;; amdgpu-corpus repo=ROCm/rocPRIM kind=compiled arch=gfx906 opt=O3
	.amdgcn_target "amdgcn-amd-amdhsa--gfx906"
	.amdhsa_code_object_version 6
	.section	.text._Z12merge_kernelILi1024EiN7rocprim17ROCPRIM_304000_NS4lessIiEEEvPT0_NS1_6detail7range_tIjEET1_,"axG",@progbits,_Z12merge_kernelILi1024EiN7rocprim17ROCPRIM_304000_NS4lessIiEEEvPT0_NS1_6detail7range_tIjEET1_,comdat
	.protected	_Z12merge_kernelILi1024EiN7rocprim17ROCPRIM_304000_NS4lessIiEEEvPT0_NS1_6detail7range_tIjEET1_ ; -- Begin function _Z12merge_kernelILi1024EiN7rocprim17ROCPRIM_304000_NS4lessIiEEEvPT0_NS1_6detail7range_tIjEET1_
	.globl	_Z12merge_kernelILi1024EiN7rocprim17ROCPRIM_304000_NS4lessIiEEEvPT0_NS1_6detail7range_tIjEET1_
	.p2align	8
	.type	_Z12merge_kernelILi1024EiN7rocprim17ROCPRIM_304000_NS4lessIiEEEvPT0_NS1_6detail7range_tIjEET1_,@function
_Z12merge_kernelILi1024EiN7rocprim17ROCPRIM_304000_NS4lessIiEEEvPT0_NS1_6detail7range_tIjEET1_: ; @_Z12merge_kernelILi1024EiN7rocprim17ROCPRIM_304000_NS4lessIiEEEvPT0_NS1_6detail7range_tIjEET1_
; %bb.0:
	s_add_u32 s0, s0, s7
	s_load_dwordx4 s[8:11], s[4:5], 0x8
	s_load_dwordx2 s[6:7], s[4:5], 0x0
	s_addc_u32 s1, s1, 0
	s_waitcnt lgkmcnt(0)
	s_cmp_gt_u32 s8, s9
	s_cselect_b64 s[4:5], -1, 0
	s_cmp_gt_u32 s10, s11
	s_cselect_b64 s[12:13], -1, 0
	s_and_b64 s[4:5], s[4:5], s[12:13]
	s_and_b64 vcc, exec, s[4:5]
	s_cbranch_vccnz .LBB0_7
; %bb.1:
	s_cmp_ge_u32 s8, s9
                                        ; implicit-def: $sgpr12
	s_cbranch_scc1 .LBB0_3
; %bb.2:
	s_mov_b32 s5, 0
	s_mov_b32 s4, s8
	s_lshl_b64 s[4:5], s[4:5], 2
	s_add_u32 s4, s6, s4
	s_addc_u32 s5, s7, s5
	s_load_dword s12, s[4:5], 0x0
.LBB0_3:
	s_cmp_ge_u32 s10, s11
                                        ; implicit-def: $sgpr13
	s_cbranch_scc1 .LBB0_5
; %bb.4:
	s_mov_b32 s5, 0
	s_mov_b32 s4, s10
	s_lshl_b64 s[4:5], s[4:5], 2
	s_add_u32 s4, s6, s4
	s_addc_u32 s5, s7, s5
	s_load_dword s13, s[4:5], 0x0
.LBB0_5:
	s_mov_b32 s5, 0
	v_mov_b32_e32 v0, 0
	s_mov_b32 s14, 0
.LBB0_6:                                ; =>This Inner Loop Header: Depth=1
	s_cmp_ge_u32 s10, s11
	s_cselect_b64 s[16:17], -1, 0
	s_cmp_lt_u32 s8, s9
	s_cselect_b64 s[18:19], -1, 0
	s_waitcnt lgkmcnt(0)
	s_cmp_ge_i32 s13, s12
	s_cselect_b64 s[20:21], -1, 0
	s_and_b64 s[18:19], s[18:19], s[20:21]
	s_or_b64 s[16:17], s[16:17], s[18:19]
	s_and_b64 s[18:19], s[16:17], exec
	s_cselect_b32 s4, s8, s10
	s_cselect_b32 s15, s9, s11
	;; [unrolled: 1-line block ×3, first 2 shown]
	s_add_i32 s20, s4, 1
	s_add_i32 s15, s15, -1
	s_lshl_b32 s19, s14, 2
	s_min_u32 s4, s20, s15
	v_add_u32_e64 v1, s19, 16
	v_mov_b32_e32 v2, s18
	s_lshl_b64 s[18:19], s[4:5], 2
	s_add_u32 s18, s6, s18
	s_addc_u32 s19, s7, s19
	buffer_store_dword v2, v1, s[0:3], 0 offen
	global_load_dword v2, v0, s[18:19]
	s_and_b64 s[16:17], s[16:17], exec
	s_cselect_b32 s10, s10, s20
	s_cselect_b32 s8, s20, s8
	s_waitcnt vmcnt(0)
	v_readfirstlane_b32 s4, v2
	s_cselect_b32 s15, s13, s4
	s_cselect_b32 s21, s4, s12
	s_cmp_ge_u32 s10, s11
	s_cselect_b64 s[12:13], -1, 0
	s_cmp_lt_u32 s8, s9
	s_cselect_b64 s[16:17], -1, 0
	s_cmp_ge_i32 s15, s21
	s_cselect_b64 s[18:19], -1, 0
	s_and_b64 s[16:17], s[16:17], s[18:19]
	s_or_b64 s[12:13], s[12:13], s[16:17]
	s_and_b64 s[16:17], s[12:13], exec
	s_cselect_b32 s4, s8, s10
	s_cselect_b32 s16, s9, s11
	s_cselect_b32 s17, s21, s15
	s_add_i32 s18, s4, 1
	s_add_i32 s16, s16, -1
	s_min_u32 s4, s18, s16
	v_mov_b32_e32 v2, s17
	s_lshl_b64 s[16:17], s[4:5], 2
	s_add_u32 s16, s6, s16
	s_addc_u32 s17, s7, s17
	buffer_store_dword v2, v1, s[0:3], 0 offen offset:4
	global_load_dword v2, v0, s[16:17]
	s_and_b64 s[12:13], s[12:13], exec
	s_cselect_b32 s10, s10, s18
	s_cselect_b32 s8, s18, s8
	s_waitcnt vmcnt(0)
	v_readfirstlane_b32 s4, v2
	s_cselect_b32 s15, s15, s4
	s_cselect_b32 s20, s4, s21
	s_cmp_ge_u32 s10, s11
	s_cselect_b64 s[12:13], -1, 0
	s_cmp_lt_u32 s8, s9
	s_cselect_b64 s[16:17], -1, 0
	s_cmp_ge_i32 s15, s20
	s_cselect_b64 s[18:19], -1, 0
	s_and_b64 s[16:17], s[16:17], s[18:19]
	s_or_b64 s[12:13], s[12:13], s[16:17]
	s_and_b64 s[16:17], s[12:13], exec
	s_cselect_b32 s4, s8, s10
	s_cselect_b32 s16, s9, s11
	s_cselect_b32 s17, s20, s15
	s_add_i32 s18, s4, 1
	s_add_i32 s16, s16, -1
	s_min_u32 s4, s18, s16
	v_mov_b32_e32 v2, s17
	s_lshl_b64 s[16:17], s[4:5], 2
	s_add_u32 s16, s6, s16
	s_addc_u32 s17, s7, s17
	buffer_store_dword v2, v1, s[0:3], 0 offen offset:8
	;; [unrolled: 28-line block ×261, first 2 shown]
	global_load_dword v2, v0, s[16:17]
	s_and_b64 s[12:13], s[12:13], exec
	s_cselect_b32 s10, s10, s18
	s_cselect_b32 s8, s18, s8
	s_waitcnt vmcnt(0)
	v_readfirstlane_b32 s4, v2
	s_cselect_b32 s15, s15, s4
	s_cselect_b32 s20, s4, s20
	s_cmp_ge_u32 s10, s11
	s_cselect_b64 s[12:13], -1, 0
	s_cmp_lt_u32 s8, s9
	s_cselect_b64 s[16:17], -1, 0
	s_cmp_ge_i32 s15, s20
	s_cselect_b64 s[18:19], -1, 0
	s_and_b64 s[16:17], s[16:17], s[18:19]
	s_or_b64 s[12:13], s[12:13], s[16:17]
	s_and_b64 s[16:17], s[12:13], exec
	s_cselect_b32 s4, s8, s10
	s_cselect_b32 s16, s9, s11
	;; [unrolled: 1-line block ×3, first 2 shown]
	s_add_i32 s18, s4, 1
	s_add_i32 s16, s16, -1
	s_min_u32 s4, s18, s16
	v_mov_b32_e32 v2, s17
	s_lshl_b64 s[16:17], s[4:5], 2
	s_add_u32 s16, s6, s16
	buffer_store_dword v2, v1, s[0:3], 0 offen offset:1048
	s_addc_u32 s17, s7, s17
	global_load_dword v2, v0, s[16:17]
	s_and_b64 s[12:13], s[12:13], exec
	s_cselect_b32 s10, s10, s18
	s_cselect_b32 s8, s18, s8
	s_waitcnt vmcnt(0)
	v_readfirstlane_b32 s4, v2
	s_cselect_b32 s15, s15, s4
	s_cselect_b32 s20, s4, s20
	s_cmp_ge_u32 s10, s11
	s_cselect_b64 s[12:13], -1, 0
	s_cmp_lt_u32 s8, s9
	s_cselect_b64 s[16:17], -1, 0
	s_cmp_ge_i32 s15, s20
	s_cselect_b64 s[18:19], -1, 0
	s_and_b64 s[16:17], s[16:17], s[18:19]
	s_or_b64 s[12:13], s[12:13], s[16:17]
	s_and_b64 s[16:17], s[12:13], exec
	s_cselect_b32 s4, s8, s10
	s_cselect_b32 s16, s9, s11
	s_cselect_b32 s17, s20, s15
	s_add_i32 s18, s4, 1
	s_add_i32 s16, s16, -1
	s_min_u32 s4, s18, s16
	v_mov_b32_e32 v2, s17
	s_lshl_b64 s[16:17], s[4:5], 2
	s_add_u32 s16, s6, s16
	s_addc_u32 s17, s7, s17
	buffer_store_dword v2, v1, s[0:3], 0 offen offset:1052
	global_load_dword v2, v0, s[16:17]
	s_and_b64 s[12:13], s[12:13], exec
	s_cselect_b32 s10, s10, s18
	s_cselect_b32 s8, s18, s8
	s_waitcnt vmcnt(0)
	v_readfirstlane_b32 s4, v2
	s_cselect_b32 s15, s15, s4
	s_cselect_b32 s20, s4, s20
	s_cmp_ge_u32 s10, s11
	s_cselect_b64 s[12:13], -1, 0
	s_cmp_lt_u32 s8, s9
	s_cselect_b64 s[16:17], -1, 0
	s_cmp_ge_i32 s15, s20
	s_cselect_b64 s[18:19], -1, 0
	s_and_b64 s[16:17], s[16:17], s[18:19]
	s_or_b64 s[12:13], s[12:13], s[16:17]
	s_and_b64 s[16:17], s[12:13], exec
	s_cselect_b32 s4, s8, s10
	s_cselect_b32 s16, s9, s11
	s_cselect_b32 s17, s20, s15
	s_add_i32 s18, s4, 1
	s_add_i32 s16, s16, -1
	s_min_u32 s4, s18, s16
	v_mov_b32_e32 v2, s17
	s_lshl_b64 s[16:17], s[4:5], 2
	s_add_u32 s16, s6, s16
	s_addc_u32 s17, s7, s17
	buffer_store_dword v2, v1, s[0:3], 0 offen offset:1056
	;; [unrolled: 28-line block ×249, first 2 shown]
	global_load_dword v1, v0, s[18:19]
	s_and_b64 s[12:13], s[12:13], exec
	s_cselect_b32 s8, s17, s8
	s_waitcnt vmcnt(0)
	v_readfirstlane_b32 s4, v1
	s_cselect_b32 s13, s10, s4
	s_cselect_b32 s12, s4, s15
	;; [unrolled: 1-line block ×3, first 2 shown]
	s_addk_i32 s14, 0x200
	s_cmpk_lg_i32 s14, 0x400
	s_cbranch_scc1 .LBB0_6
.LBB0_7:
	s_cmp_eq_u32 s11, 0
	s_cbranch_scc1 .LBB0_9
; %bb.8:
	buffer_load_dword v0, off, s[0:3], 0 offset:16
	v_mov_b32_e32 v1, 0
	s_waitcnt vmcnt(0)
	global_store_dword v1, v0, s[6:7]
.LBB0_9:
	s_cmp_lt_u32 s11, 2
	s_cbranch_scc0 .LBB0_1033
; %bb.10:
	s_cmp_lt_u32 s11, 3
	s_cbranch_scc0 .LBB0_1034
.LBB0_11:
	s_cmp_lt_u32 s11, 4
	s_cbranch_scc0 .LBB0_1035
.LBB0_12:
	s_cmp_lt_u32 s11, 5
	s_cbranch_scc0 .LBB0_1036
.LBB0_13:
	s_cmp_lt_u32 s11, 6
	s_cbranch_scc0 .LBB0_1037
.LBB0_14:
	s_cmp_lt_u32 s11, 7
	s_cbranch_scc0 .LBB0_1038
.LBB0_15:
	s_cmp_lt_u32 s11, 8
	s_cbranch_scc0 .LBB0_1039
.LBB0_16:
	s_cmp_lt_u32 s11, 9
	s_cbranch_scc0 .LBB0_1040
.LBB0_17:
	s_cmp_lt_u32 s11, 10
	s_cbranch_scc0 .LBB0_1041
.LBB0_18:
	s_cmp_lt_u32 s11, 11
	s_cbranch_scc0 .LBB0_1042
.LBB0_19:
	s_cmp_lt_u32 s11, 12
	s_cbranch_scc0 .LBB0_1043
.LBB0_20:
	s_cmp_lt_u32 s11, 13
	s_cbranch_scc0 .LBB0_1044
.LBB0_21:
	s_cmp_lt_u32 s11, 14
	s_cbranch_scc0 .LBB0_1045
.LBB0_22:
	s_cmp_lt_u32 s11, 15
	s_cbranch_scc0 .LBB0_1046
.LBB0_23:
	s_cmp_lt_u32 s11, 16
	s_cbranch_scc0 .LBB0_1047
.LBB0_24:
	s_cmp_lt_u32 s11, 17
	s_cbranch_scc0 .LBB0_1048
.LBB0_25:
	s_cmp_lt_u32 s11, 18
	s_cbranch_scc0 .LBB0_1049
.LBB0_26:
	s_cmp_lt_u32 s11, 19
	s_cbranch_scc0 .LBB0_1050
.LBB0_27:
	s_cmp_lt_u32 s11, 20
	s_cbranch_scc0 .LBB0_1051
.LBB0_28:
	s_cmp_lt_u32 s11, 21
	s_cbranch_scc0 .LBB0_1052
.LBB0_29:
	s_cmp_lt_u32 s11, 22
	s_cbranch_scc0 .LBB0_1053
.LBB0_30:
	s_cmp_lt_u32 s11, 23
	s_cbranch_scc0 .LBB0_1054
.LBB0_31:
	s_cmp_lt_u32 s11, 24
	s_cbranch_scc0 .LBB0_1055
.LBB0_32:
	s_cmp_lt_u32 s11, 25
	s_cbranch_scc0 .LBB0_1056
.LBB0_33:
	s_cmp_lt_u32 s11, 26
	s_cbranch_scc0 .LBB0_1057
.LBB0_34:
	s_cmp_lt_u32 s11, 27
	s_cbranch_scc0 .LBB0_1058
.LBB0_35:
	s_cmp_lt_u32 s11, 28
	s_cbranch_scc0 .LBB0_1059
.LBB0_36:
	s_cmp_lt_u32 s11, 29
	s_cbranch_scc0 .LBB0_1060
.LBB0_37:
	s_cmp_lt_u32 s11, 30
	s_cbranch_scc0 .LBB0_1061
.LBB0_38:
	s_cmp_lt_u32 s11, 31
	s_cbranch_scc0 .LBB0_1062
.LBB0_39:
	s_cmp_lt_u32 s11, 32
	s_cbranch_scc0 .LBB0_1063
.LBB0_40:
	s_cmp_lt_u32 s11, 33
	s_cbranch_scc0 .LBB0_1064
.LBB0_41:
	s_cmp_lt_u32 s11, 34
	s_cbranch_scc0 .LBB0_1065
.LBB0_42:
	s_cmp_lt_u32 s11, 35
	s_cbranch_scc0 .LBB0_1066
.LBB0_43:
	s_cmp_lt_u32 s11, 36
	s_cbranch_scc0 .LBB0_1067
.LBB0_44:
	s_cmp_lt_u32 s11, 37
	s_cbranch_scc0 .LBB0_1068
.LBB0_45:
	s_cmp_lt_u32 s11, 38
	s_cbranch_scc0 .LBB0_1069
.LBB0_46:
	s_cmp_lt_u32 s11, 39
	s_cbranch_scc0 .LBB0_1070
.LBB0_47:
	s_cmp_lt_u32 s11, 40
	s_cbranch_scc0 .LBB0_1071
.LBB0_48:
	s_cmp_lt_u32 s11, 41
	s_cbranch_scc0 .LBB0_1072
.LBB0_49:
	s_cmp_lt_u32 s11, 42
	s_cbranch_scc0 .LBB0_1073
.LBB0_50:
	s_cmp_lt_u32 s11, 43
	s_cbranch_scc0 .LBB0_1074
.LBB0_51:
	s_cmp_lt_u32 s11, 44
	s_cbranch_scc0 .LBB0_1075
.LBB0_52:
	s_cmp_lt_u32 s11, 45
	s_cbranch_scc0 .LBB0_1076
.LBB0_53:
	s_cmp_lt_u32 s11, 46
	s_cbranch_scc0 .LBB0_1077
.LBB0_54:
	s_cmp_lt_u32 s11, 47
	s_cbranch_scc0 .LBB0_1078
.LBB0_55:
	s_cmp_lt_u32 s11, 48
	s_cbranch_scc0 .LBB0_1079
.LBB0_56:
	s_cmp_lt_u32 s11, 49
	s_cbranch_scc0 .LBB0_1080
.LBB0_57:
	s_cmp_lt_u32 s11, 50
	s_cbranch_scc0 .LBB0_1081
.LBB0_58:
	s_cmp_lt_u32 s11, 51
	s_cbranch_scc0 .LBB0_1082
.LBB0_59:
	s_cmp_lt_u32 s11, 52
	s_cbranch_scc0 .LBB0_1083
.LBB0_60:
	s_cmp_lt_u32 s11, 53
	s_cbranch_scc0 .LBB0_1084
.LBB0_61:
	s_cmp_lt_u32 s11, 54
	s_cbranch_scc0 .LBB0_1085
.LBB0_62:
	s_cmp_lt_u32 s11, 55
	s_cbranch_scc0 .LBB0_1086
.LBB0_63:
	s_cmp_lt_u32 s11, 56
	s_cbranch_scc0 .LBB0_1087
.LBB0_64:
	s_cmp_lt_u32 s11, 57
	s_cbranch_scc0 .LBB0_1088
.LBB0_65:
	s_cmp_lt_u32 s11, 58
	s_cbranch_scc0 .LBB0_1089
.LBB0_66:
	s_cmp_lt_u32 s11, 59
	s_cbranch_scc0 .LBB0_1090
.LBB0_67:
	s_cmp_lt_u32 s11, 60
	s_cbranch_scc0 .LBB0_1091
.LBB0_68:
	s_cmp_lt_u32 s11, 61
	s_cbranch_scc0 .LBB0_1092
.LBB0_69:
	s_cmp_lt_u32 s11, 62
	s_cbranch_scc0 .LBB0_1093
.LBB0_70:
	s_cmp_lt_u32 s11, 63
	s_cbranch_scc0 .LBB0_1094
.LBB0_71:
	s_cmp_lt_u32 s11, 64
	s_cbranch_scc0 .LBB0_1095
.LBB0_72:
	s_cmpk_lt_u32 s11, 0x41
	s_cbranch_scc0 .LBB0_1096
.LBB0_73:
	s_cmpk_lt_u32 s11, 0x42
	s_cbranch_scc0 .LBB0_1097
.LBB0_74:
	s_cmpk_lt_u32 s11, 0x43
	s_cbranch_scc0 .LBB0_1098
.LBB0_75:
	s_cmpk_lt_u32 s11, 0x44
	s_cbranch_scc0 .LBB0_1099
.LBB0_76:
	s_cmpk_lt_u32 s11, 0x45
	s_cbranch_scc0 .LBB0_1100
.LBB0_77:
	s_cmpk_lt_u32 s11, 0x46
	s_cbranch_scc0 .LBB0_1101
.LBB0_78:
	s_cmpk_lt_u32 s11, 0x47
	s_cbranch_scc0 .LBB0_1102
.LBB0_79:
	s_cmpk_lt_u32 s11, 0x48
	s_cbranch_scc0 .LBB0_1103
.LBB0_80:
	s_cmpk_lt_u32 s11, 0x49
	s_cbranch_scc0 .LBB0_1104
.LBB0_81:
	s_cmpk_lt_u32 s11, 0x4a
	s_cbranch_scc0 .LBB0_1105
.LBB0_82:
	s_cmpk_lt_u32 s11, 0x4b
	s_cbranch_scc0 .LBB0_1106
.LBB0_83:
	s_cmpk_lt_u32 s11, 0x4c
	s_cbranch_scc0 .LBB0_1107
.LBB0_84:
	s_cmpk_lt_u32 s11, 0x4d
	s_cbranch_scc0 .LBB0_1108
.LBB0_85:
	s_cmpk_lt_u32 s11, 0x4e
	s_cbranch_scc0 .LBB0_1109
.LBB0_86:
	s_cmpk_lt_u32 s11, 0x4f
	s_cbranch_scc0 .LBB0_1110
.LBB0_87:
	s_cmpk_lt_u32 s11, 0x50
	s_cbranch_scc0 .LBB0_1111
.LBB0_88:
	s_cmpk_lt_u32 s11, 0x51
	s_cbranch_scc0 .LBB0_1112
.LBB0_89:
	s_cmpk_lt_u32 s11, 0x52
	s_cbranch_scc0 .LBB0_1113
.LBB0_90:
	s_cmpk_lt_u32 s11, 0x53
	s_cbranch_scc0 .LBB0_1114
.LBB0_91:
	s_cmpk_lt_u32 s11, 0x54
	s_cbranch_scc0 .LBB0_1115
.LBB0_92:
	s_cmpk_lt_u32 s11, 0x55
	s_cbranch_scc0 .LBB0_1116
.LBB0_93:
	s_cmpk_lt_u32 s11, 0x56
	s_cbranch_scc0 .LBB0_1117
.LBB0_94:
	s_cmpk_lt_u32 s11, 0x57
	s_cbranch_scc0 .LBB0_1118
.LBB0_95:
	s_cmpk_lt_u32 s11, 0x58
	s_cbranch_scc0 .LBB0_1119
.LBB0_96:
	s_cmpk_lt_u32 s11, 0x59
	s_cbranch_scc0 .LBB0_1120
.LBB0_97:
	s_cmpk_lt_u32 s11, 0x5a
	s_cbranch_scc0 .LBB0_1121
.LBB0_98:
	s_cmpk_lt_u32 s11, 0x5b
	s_cbranch_scc0 .LBB0_1122
.LBB0_99:
	s_cmpk_lt_u32 s11, 0x5c
	s_cbranch_scc0 .LBB0_1123
.LBB0_100:
	s_cmpk_lt_u32 s11, 0x5d
	s_cbranch_scc0 .LBB0_1124
.LBB0_101:
	s_cmpk_lt_u32 s11, 0x5e
	s_cbranch_scc0 .LBB0_1125
.LBB0_102:
	s_cmpk_lt_u32 s11, 0x5f
	s_cbranch_scc0 .LBB0_1126
.LBB0_103:
	s_cmpk_lt_u32 s11, 0x60
	s_cbranch_scc0 .LBB0_1127
.LBB0_104:
	s_cmpk_lt_u32 s11, 0x61
	s_cbranch_scc0 .LBB0_1128
.LBB0_105:
	s_cmpk_lt_u32 s11, 0x62
	s_cbranch_scc0 .LBB0_1129
.LBB0_106:
	s_cmpk_lt_u32 s11, 0x63
	s_cbranch_scc0 .LBB0_1130
.LBB0_107:
	s_cmpk_lt_u32 s11, 0x64
	s_cbranch_scc0 .LBB0_1131
.LBB0_108:
	s_cmpk_lt_u32 s11, 0x65
	s_cbranch_scc0 .LBB0_1132
.LBB0_109:
	s_cmpk_lt_u32 s11, 0x66
	s_cbranch_scc0 .LBB0_1133
.LBB0_110:
	s_cmpk_lt_u32 s11, 0x67
	s_cbranch_scc0 .LBB0_1134
.LBB0_111:
	s_cmpk_lt_u32 s11, 0x68
	s_cbranch_scc0 .LBB0_1135
.LBB0_112:
	s_cmpk_lt_u32 s11, 0x69
	s_cbranch_scc0 .LBB0_1136
.LBB0_113:
	s_cmpk_lt_u32 s11, 0x6a
	s_cbranch_scc0 .LBB0_1137
.LBB0_114:
	s_cmpk_lt_u32 s11, 0x6b
	s_cbranch_scc0 .LBB0_1138
.LBB0_115:
	s_cmpk_lt_u32 s11, 0x6c
	s_cbranch_scc0 .LBB0_1139
.LBB0_116:
	s_cmpk_lt_u32 s11, 0x6d
	s_cbranch_scc0 .LBB0_1140
.LBB0_117:
	s_cmpk_lt_u32 s11, 0x6e
	s_cbranch_scc0 .LBB0_1141
.LBB0_118:
	s_cmpk_lt_u32 s11, 0x6f
	s_cbranch_scc0 .LBB0_1142
.LBB0_119:
	s_cmpk_lt_u32 s11, 0x70
	s_cbranch_scc0 .LBB0_1143
.LBB0_120:
	s_cmpk_lt_u32 s11, 0x71
	s_cbranch_scc0 .LBB0_1144
.LBB0_121:
	s_cmpk_lt_u32 s11, 0x72
	s_cbranch_scc0 .LBB0_1145
.LBB0_122:
	s_cmpk_lt_u32 s11, 0x73
	s_cbranch_scc0 .LBB0_1146
.LBB0_123:
	s_cmpk_lt_u32 s11, 0x74
	s_cbranch_scc0 .LBB0_1147
.LBB0_124:
	s_cmpk_lt_u32 s11, 0x75
	s_cbranch_scc0 .LBB0_1148
.LBB0_125:
	s_cmpk_lt_u32 s11, 0x76
	s_cbranch_scc0 .LBB0_1149
.LBB0_126:
	s_cmpk_lt_u32 s11, 0x77
	s_cbranch_scc0 .LBB0_1150
.LBB0_127:
	s_cmpk_lt_u32 s11, 0x78
	s_cbranch_scc0 .LBB0_1151
.LBB0_128:
	s_cmpk_lt_u32 s11, 0x79
	s_cbranch_scc0 .LBB0_1152
.LBB0_129:
	s_cmpk_lt_u32 s11, 0x7a
	s_cbranch_scc0 .LBB0_1153
.LBB0_130:
	s_cmpk_lt_u32 s11, 0x7b
	s_cbranch_scc0 .LBB0_1154
.LBB0_131:
	s_cmpk_lt_u32 s11, 0x7c
	s_cbranch_scc0 .LBB0_1155
.LBB0_132:
	s_cmpk_lt_u32 s11, 0x7d
	s_cbranch_scc0 .LBB0_1156
.LBB0_133:
	s_cmpk_lt_u32 s11, 0x7e
	s_cbranch_scc0 .LBB0_1157
.LBB0_134:
	s_cmpk_lt_u32 s11, 0x7f
	s_cbranch_scc0 .LBB0_1158
.LBB0_135:
	s_cmpk_lt_u32 s11, 0x80
	s_cbranch_scc0 .LBB0_1159
.LBB0_136:
	s_cmpk_lt_u32 s11, 0x81
	s_cbranch_scc0 .LBB0_1160
.LBB0_137:
	s_cmpk_lt_u32 s11, 0x82
	s_cbranch_scc0 .LBB0_1161
.LBB0_138:
	s_cmpk_lt_u32 s11, 0x83
	s_cbranch_scc0 .LBB0_1162
.LBB0_139:
	s_cmpk_lt_u32 s11, 0x84
	s_cbranch_scc0 .LBB0_1163
.LBB0_140:
	s_cmpk_lt_u32 s11, 0x85
	s_cbranch_scc0 .LBB0_1164
.LBB0_141:
	s_cmpk_lt_u32 s11, 0x86
	s_cbranch_scc0 .LBB0_1165
.LBB0_142:
	s_cmpk_lt_u32 s11, 0x87
	s_cbranch_scc0 .LBB0_1166
.LBB0_143:
	s_cmpk_lt_u32 s11, 0x88
	s_cbranch_scc0 .LBB0_1167
.LBB0_144:
	s_cmpk_lt_u32 s11, 0x89
	s_cbranch_scc0 .LBB0_1168
.LBB0_145:
	s_cmpk_lt_u32 s11, 0x8a
	s_cbranch_scc0 .LBB0_1169
.LBB0_146:
	s_cmpk_lt_u32 s11, 0x8b
	s_cbranch_scc0 .LBB0_1170
.LBB0_147:
	s_cmpk_lt_u32 s11, 0x8c
	s_cbranch_scc0 .LBB0_1171
.LBB0_148:
	s_cmpk_lt_u32 s11, 0x8d
	s_cbranch_scc0 .LBB0_1172
.LBB0_149:
	s_cmpk_lt_u32 s11, 0x8e
	s_cbranch_scc0 .LBB0_1173
.LBB0_150:
	s_cmpk_lt_u32 s11, 0x8f
	s_cbranch_scc0 .LBB0_1174
.LBB0_151:
	s_cmpk_lt_u32 s11, 0x90
	s_cbranch_scc0 .LBB0_1175
.LBB0_152:
	s_cmpk_lt_u32 s11, 0x91
	s_cbranch_scc0 .LBB0_1176
.LBB0_153:
	s_cmpk_lt_u32 s11, 0x92
	s_cbranch_scc0 .LBB0_1177
.LBB0_154:
	s_cmpk_lt_u32 s11, 0x93
	s_cbranch_scc0 .LBB0_1178
.LBB0_155:
	s_cmpk_lt_u32 s11, 0x94
	s_cbranch_scc0 .LBB0_1179
.LBB0_156:
	s_cmpk_lt_u32 s11, 0x95
	s_cbranch_scc0 .LBB0_1180
.LBB0_157:
	s_cmpk_lt_u32 s11, 0x96
	s_cbranch_scc0 .LBB0_1181
.LBB0_158:
	s_cmpk_lt_u32 s11, 0x97
	s_cbranch_scc0 .LBB0_1182
.LBB0_159:
	s_cmpk_lt_u32 s11, 0x98
	s_cbranch_scc0 .LBB0_1183
.LBB0_160:
	s_cmpk_lt_u32 s11, 0x99
	s_cbranch_scc0 .LBB0_1184
.LBB0_161:
	s_cmpk_lt_u32 s11, 0x9a
	s_cbranch_scc0 .LBB0_1185
.LBB0_162:
	s_cmpk_lt_u32 s11, 0x9b
	s_cbranch_scc0 .LBB0_1186
.LBB0_163:
	s_cmpk_lt_u32 s11, 0x9c
	s_cbranch_scc0 .LBB0_1187
.LBB0_164:
	s_cmpk_lt_u32 s11, 0x9d
	s_cbranch_scc0 .LBB0_1188
.LBB0_165:
	s_cmpk_lt_u32 s11, 0x9e
	s_cbranch_scc0 .LBB0_1189
.LBB0_166:
	s_cmpk_lt_u32 s11, 0x9f
	s_cbranch_scc0 .LBB0_1190
.LBB0_167:
	s_cmpk_lt_u32 s11, 0xa0
	s_cbranch_scc0 .LBB0_1191
.LBB0_168:
	s_cmpk_lt_u32 s11, 0xa1
	s_cbranch_scc0 .LBB0_1192
.LBB0_169:
	s_cmpk_lt_u32 s11, 0xa2
	s_cbranch_scc0 .LBB0_1193
.LBB0_170:
	s_cmpk_lt_u32 s11, 0xa3
	s_cbranch_scc0 .LBB0_1194
.LBB0_171:
	s_cmpk_lt_u32 s11, 0xa4
	s_cbranch_scc0 .LBB0_1195
.LBB0_172:
	s_cmpk_lt_u32 s11, 0xa5
	s_cbranch_scc0 .LBB0_1196
.LBB0_173:
	s_cmpk_lt_u32 s11, 0xa6
	s_cbranch_scc0 .LBB0_1197
.LBB0_174:
	s_cmpk_lt_u32 s11, 0xa7
	s_cbranch_scc0 .LBB0_1198
.LBB0_175:
	s_cmpk_lt_u32 s11, 0xa8
	s_cbranch_scc0 .LBB0_1199
.LBB0_176:
	s_cmpk_lt_u32 s11, 0xa9
	s_cbranch_scc0 .LBB0_1200
.LBB0_177:
	s_cmpk_lt_u32 s11, 0xaa
	s_cbranch_scc0 .LBB0_1201
.LBB0_178:
	s_cmpk_lt_u32 s11, 0xab
	s_cbranch_scc0 .LBB0_1202
.LBB0_179:
	s_cmpk_lt_u32 s11, 0xac
	s_cbranch_scc0 .LBB0_1203
.LBB0_180:
	s_cmpk_lt_u32 s11, 0xad
	s_cbranch_scc0 .LBB0_1204
.LBB0_181:
	s_cmpk_lt_u32 s11, 0xae
	s_cbranch_scc0 .LBB0_1205
.LBB0_182:
	s_cmpk_lt_u32 s11, 0xaf
	s_cbranch_scc0 .LBB0_1206
.LBB0_183:
	s_cmpk_lt_u32 s11, 0xb0
	s_cbranch_scc0 .LBB0_1207
.LBB0_184:
	s_cmpk_lt_u32 s11, 0xb1
	s_cbranch_scc0 .LBB0_1208
.LBB0_185:
	s_cmpk_lt_u32 s11, 0xb2
	s_cbranch_scc0 .LBB0_1209
.LBB0_186:
	s_cmpk_lt_u32 s11, 0xb3
	s_cbranch_scc0 .LBB0_1210
.LBB0_187:
	s_cmpk_lt_u32 s11, 0xb4
	s_cbranch_scc0 .LBB0_1211
.LBB0_188:
	s_cmpk_lt_u32 s11, 0xb5
	s_cbranch_scc0 .LBB0_1212
.LBB0_189:
	s_cmpk_lt_u32 s11, 0xb6
	s_cbranch_scc0 .LBB0_1213
.LBB0_190:
	s_cmpk_lt_u32 s11, 0xb7
	s_cbranch_scc0 .LBB0_1214
.LBB0_191:
	s_cmpk_lt_u32 s11, 0xb8
	s_cbranch_scc0 .LBB0_1215
.LBB0_192:
	s_cmpk_lt_u32 s11, 0xb9
	s_cbranch_scc0 .LBB0_1216
.LBB0_193:
	s_cmpk_lt_u32 s11, 0xba
	s_cbranch_scc0 .LBB0_1217
.LBB0_194:
	s_cmpk_lt_u32 s11, 0xbb
	s_cbranch_scc0 .LBB0_1218
.LBB0_195:
	s_cmpk_lt_u32 s11, 0xbc
	s_cbranch_scc0 .LBB0_1219
.LBB0_196:
	s_cmpk_lt_u32 s11, 0xbd
	s_cbranch_scc0 .LBB0_1220
.LBB0_197:
	s_cmpk_lt_u32 s11, 0xbe
	s_cbranch_scc0 .LBB0_1221
.LBB0_198:
	s_cmpk_lt_u32 s11, 0xbf
	s_cbranch_scc0 .LBB0_1222
.LBB0_199:
	s_cmpk_lt_u32 s11, 0xc0
	s_cbranch_scc0 .LBB0_1223
.LBB0_200:
	s_cmpk_lt_u32 s11, 0xc1
	s_cbranch_scc0 .LBB0_1224
.LBB0_201:
	s_cmpk_lt_u32 s11, 0xc2
	s_cbranch_scc0 .LBB0_1225
.LBB0_202:
	s_cmpk_lt_u32 s11, 0xc3
	s_cbranch_scc0 .LBB0_1226
.LBB0_203:
	s_cmpk_lt_u32 s11, 0xc4
	s_cbranch_scc0 .LBB0_1227
.LBB0_204:
	s_cmpk_lt_u32 s11, 0xc5
	s_cbranch_scc0 .LBB0_1228
.LBB0_205:
	s_cmpk_lt_u32 s11, 0xc6
	s_cbranch_scc0 .LBB0_1229
.LBB0_206:
	s_cmpk_lt_u32 s11, 0xc7
	s_cbranch_scc0 .LBB0_1230
.LBB0_207:
	s_cmpk_lt_u32 s11, 0xc8
	s_cbranch_scc0 .LBB0_1231
.LBB0_208:
	s_cmpk_lt_u32 s11, 0xc9
	s_cbranch_scc0 .LBB0_1232
.LBB0_209:
	s_cmpk_lt_u32 s11, 0xca
	s_cbranch_scc0 .LBB0_1233
.LBB0_210:
	s_cmpk_lt_u32 s11, 0xcb
	s_cbranch_scc0 .LBB0_1234
.LBB0_211:
	s_cmpk_lt_u32 s11, 0xcc
	s_cbranch_scc0 .LBB0_1235
.LBB0_212:
	s_cmpk_lt_u32 s11, 0xcd
	s_cbranch_scc0 .LBB0_1236
.LBB0_213:
	s_cmpk_lt_u32 s11, 0xce
	s_cbranch_scc0 .LBB0_1237
.LBB0_214:
	s_cmpk_lt_u32 s11, 0xcf
	s_cbranch_scc0 .LBB0_1238
.LBB0_215:
	s_cmpk_lt_u32 s11, 0xd0
	s_cbranch_scc0 .LBB0_1239
.LBB0_216:
	s_cmpk_lt_u32 s11, 0xd1
	s_cbranch_scc0 .LBB0_1240
.LBB0_217:
	s_cmpk_lt_u32 s11, 0xd2
	s_cbranch_scc0 .LBB0_1241
.LBB0_218:
	s_cmpk_lt_u32 s11, 0xd3
	s_cbranch_scc0 .LBB0_1242
.LBB0_219:
	s_cmpk_lt_u32 s11, 0xd4
	s_cbranch_scc0 .LBB0_1243
.LBB0_220:
	s_cmpk_lt_u32 s11, 0xd5
	s_cbranch_scc0 .LBB0_1244
.LBB0_221:
	s_cmpk_lt_u32 s11, 0xd6
	s_cbranch_scc0 .LBB0_1245
.LBB0_222:
	s_cmpk_lt_u32 s11, 0xd7
	s_cbranch_scc0 .LBB0_1246
.LBB0_223:
	s_cmpk_lt_u32 s11, 0xd8
	s_cbranch_scc0 .LBB0_1247
.LBB0_224:
	s_cmpk_lt_u32 s11, 0xd9
	s_cbranch_scc0 .LBB0_1248
.LBB0_225:
	s_cmpk_lt_u32 s11, 0xda
	s_cbranch_scc0 .LBB0_1249
.LBB0_226:
	s_cmpk_lt_u32 s11, 0xdb
	s_cbranch_scc0 .LBB0_1250
.LBB0_227:
	s_cmpk_lt_u32 s11, 0xdc
	s_cbranch_scc0 .LBB0_1251
.LBB0_228:
	s_cmpk_lt_u32 s11, 0xdd
	s_cbranch_scc0 .LBB0_1252
.LBB0_229:
	s_cmpk_lt_u32 s11, 0xde
	s_cbranch_scc0 .LBB0_1253
.LBB0_230:
	s_cmpk_lt_u32 s11, 0xdf
	s_cbranch_scc0 .LBB0_1254
.LBB0_231:
	s_cmpk_lt_u32 s11, 0xe0
	s_cbranch_scc0 .LBB0_1255
.LBB0_232:
	s_cmpk_lt_u32 s11, 0xe1
	s_cbranch_scc0 .LBB0_1256
.LBB0_233:
	s_cmpk_lt_u32 s11, 0xe2
	s_cbranch_scc0 .LBB0_1257
.LBB0_234:
	s_cmpk_lt_u32 s11, 0xe3
	s_cbranch_scc0 .LBB0_1258
.LBB0_235:
	s_cmpk_lt_u32 s11, 0xe4
	s_cbranch_scc0 .LBB0_1259
.LBB0_236:
	s_cmpk_lt_u32 s11, 0xe5
	s_cbranch_scc0 .LBB0_1260
.LBB0_237:
	s_cmpk_lt_u32 s11, 0xe6
	s_cbranch_scc0 .LBB0_1261
.LBB0_238:
	s_cmpk_lt_u32 s11, 0xe7
	s_cbranch_scc0 .LBB0_1262
.LBB0_239:
	s_cmpk_lt_u32 s11, 0xe8
	s_cbranch_scc0 .LBB0_1263
.LBB0_240:
	s_cmpk_lt_u32 s11, 0xe9
	s_cbranch_scc0 .LBB0_1264
.LBB0_241:
	s_cmpk_lt_u32 s11, 0xea
	s_cbranch_scc0 .LBB0_1265
.LBB0_242:
	s_cmpk_lt_u32 s11, 0xeb
	s_cbranch_scc0 .LBB0_1266
.LBB0_243:
	s_cmpk_lt_u32 s11, 0xec
	s_cbranch_scc0 .LBB0_1267
.LBB0_244:
	s_cmpk_lt_u32 s11, 0xed
	s_cbranch_scc0 .LBB0_1268
.LBB0_245:
	s_cmpk_lt_u32 s11, 0xee
	s_cbranch_scc0 .LBB0_1269
.LBB0_246:
	s_cmpk_lt_u32 s11, 0xef
	s_cbranch_scc0 .LBB0_1270
.LBB0_247:
	s_cmpk_lt_u32 s11, 0xf0
	s_cbranch_scc0 .LBB0_1271
.LBB0_248:
	s_cmpk_lt_u32 s11, 0xf1
	s_cbranch_scc0 .LBB0_1272
.LBB0_249:
	s_cmpk_lt_u32 s11, 0xf2
	s_cbranch_scc0 .LBB0_1273
.LBB0_250:
	s_cmpk_lt_u32 s11, 0xf3
	s_cbranch_scc0 .LBB0_1274
.LBB0_251:
	s_cmpk_lt_u32 s11, 0xf4
	s_cbranch_scc0 .LBB0_1275
.LBB0_252:
	s_cmpk_lt_u32 s11, 0xf5
	s_cbranch_scc0 .LBB0_1276
.LBB0_253:
	s_cmpk_lt_u32 s11, 0xf6
	s_cbranch_scc0 .LBB0_1277
.LBB0_254:
	s_cmpk_lt_u32 s11, 0xf7
	s_cbranch_scc0 .LBB0_1278
.LBB0_255:
	s_cmpk_lt_u32 s11, 0xf8
	s_cbranch_scc0 .LBB0_1279
.LBB0_256:
	s_cmpk_lt_u32 s11, 0xf9
	s_cbranch_scc0 .LBB0_1280
.LBB0_257:
	s_cmpk_lt_u32 s11, 0xfa
	s_cbranch_scc0 .LBB0_1281
.LBB0_258:
	s_cmpk_lt_u32 s11, 0xfb
	s_cbranch_scc0 .LBB0_1282
.LBB0_259:
	s_cmpk_lt_u32 s11, 0xfc
	s_cbranch_scc0 .LBB0_1283
.LBB0_260:
	s_cmpk_lt_u32 s11, 0xfd
	s_cbranch_scc0 .LBB0_1284
.LBB0_261:
	s_cmpk_lt_u32 s11, 0xfe
	s_cbranch_scc0 .LBB0_1285
.LBB0_262:
	s_cmpk_lt_u32 s11, 0xff
	s_cbranch_scc0 .LBB0_1286
.LBB0_263:
	s_cmpk_lt_u32 s11, 0x100
	s_cbranch_scc0 .LBB0_1287
.LBB0_264:
	s_cmpk_lt_u32 s11, 0x101
	s_cbranch_scc0 .LBB0_1288
.LBB0_265:
	s_cmpk_lt_u32 s11, 0x102
	s_cbranch_scc0 .LBB0_1289
.LBB0_266:
	s_cmpk_lt_u32 s11, 0x103
	s_cbranch_scc0 .LBB0_1290
.LBB0_267:
	s_cmpk_lt_u32 s11, 0x104
	s_cbranch_scc0 .LBB0_1291
.LBB0_268:
	s_cmpk_lt_u32 s11, 0x105
	s_cbranch_scc0 .LBB0_1292
.LBB0_269:
	s_cmpk_lt_u32 s11, 0x106
	s_cbranch_scc0 .LBB0_1293
.LBB0_270:
	s_cmpk_lt_u32 s11, 0x107
	s_cbranch_scc0 .LBB0_1294
.LBB0_271:
	s_cmpk_lt_u32 s11, 0x108
	s_cbranch_scc0 .LBB0_1295
.LBB0_272:
	s_cmpk_lt_u32 s11, 0x109
	s_cbranch_scc0 .LBB0_1296
.LBB0_273:
	s_cmpk_lt_u32 s11, 0x10a
	s_cbranch_scc0 .LBB0_1297
.LBB0_274:
	s_cmpk_lt_u32 s11, 0x10b
	s_cbranch_scc0 .LBB0_1298
.LBB0_275:
	s_cmpk_lt_u32 s11, 0x10c
	s_cbranch_scc0 .LBB0_1299
.LBB0_276:
	s_cmpk_lt_u32 s11, 0x10d
	s_cbranch_scc0 .LBB0_1300
.LBB0_277:
	s_cmpk_lt_u32 s11, 0x10e
	s_cbranch_scc0 .LBB0_1301
.LBB0_278:
	s_cmpk_lt_u32 s11, 0x10f
	s_cbranch_scc0 .LBB0_1302
.LBB0_279:
	s_cmpk_lt_u32 s11, 0x110
	s_cbranch_scc0 .LBB0_1303
.LBB0_280:
	s_cmpk_lt_u32 s11, 0x111
	s_cbranch_scc0 .LBB0_1304
.LBB0_281:
	s_cmpk_lt_u32 s11, 0x112
	s_cbranch_scc0 .LBB0_1305
.LBB0_282:
	s_cmpk_lt_u32 s11, 0x113
	s_cbranch_scc0 .LBB0_1306
.LBB0_283:
	s_cmpk_lt_u32 s11, 0x114
	s_cbranch_scc0 .LBB0_1307
.LBB0_284:
	s_cmpk_lt_u32 s11, 0x115
	s_cbranch_scc0 .LBB0_1308
.LBB0_285:
	s_cmpk_lt_u32 s11, 0x116
	s_cbranch_scc0 .LBB0_1309
.LBB0_286:
	s_cmpk_lt_u32 s11, 0x117
	s_cbranch_scc0 .LBB0_1310
.LBB0_287:
	s_cmpk_lt_u32 s11, 0x118
	s_cbranch_scc0 .LBB0_1311
.LBB0_288:
	s_cmpk_lt_u32 s11, 0x119
	s_cbranch_scc0 .LBB0_1312
.LBB0_289:
	s_cmpk_lt_u32 s11, 0x11a
	s_cbranch_scc0 .LBB0_1313
.LBB0_290:
	s_cmpk_lt_u32 s11, 0x11b
	s_cbranch_scc0 .LBB0_1314
.LBB0_291:
	s_cmpk_lt_u32 s11, 0x11c
	s_cbranch_scc0 .LBB0_1315
.LBB0_292:
	s_cmpk_lt_u32 s11, 0x11d
	s_cbranch_scc0 .LBB0_1316
.LBB0_293:
	s_cmpk_lt_u32 s11, 0x11e
	s_cbranch_scc0 .LBB0_1317
.LBB0_294:
	s_cmpk_lt_u32 s11, 0x11f
	s_cbranch_scc0 .LBB0_1318
.LBB0_295:
	s_cmpk_lt_u32 s11, 0x120
	s_cbranch_scc0 .LBB0_1319
.LBB0_296:
	s_cmpk_lt_u32 s11, 0x121
	s_cbranch_scc0 .LBB0_1320
.LBB0_297:
	s_cmpk_lt_u32 s11, 0x122
	s_cbranch_scc0 .LBB0_1321
.LBB0_298:
	s_cmpk_lt_u32 s11, 0x123
	s_cbranch_scc0 .LBB0_1322
.LBB0_299:
	s_cmpk_lt_u32 s11, 0x124
	s_cbranch_scc0 .LBB0_1323
.LBB0_300:
	s_cmpk_lt_u32 s11, 0x125
	s_cbranch_scc0 .LBB0_1324
.LBB0_301:
	s_cmpk_lt_u32 s11, 0x126
	s_cbranch_scc0 .LBB0_1325
.LBB0_302:
	s_cmpk_lt_u32 s11, 0x127
	s_cbranch_scc0 .LBB0_1326
.LBB0_303:
	s_cmpk_lt_u32 s11, 0x128
	s_cbranch_scc0 .LBB0_1327
.LBB0_304:
	s_cmpk_lt_u32 s11, 0x129
	s_cbranch_scc0 .LBB0_1328
.LBB0_305:
	s_cmpk_lt_u32 s11, 0x12a
	s_cbranch_scc0 .LBB0_1329
.LBB0_306:
	s_cmpk_lt_u32 s11, 0x12b
	s_cbranch_scc0 .LBB0_1330
.LBB0_307:
	s_cmpk_lt_u32 s11, 0x12c
	s_cbranch_scc0 .LBB0_1331
.LBB0_308:
	s_cmpk_lt_u32 s11, 0x12d
	s_cbranch_scc0 .LBB0_1332
.LBB0_309:
	s_cmpk_lt_u32 s11, 0x12e
	s_cbranch_scc0 .LBB0_1333
.LBB0_310:
	s_cmpk_lt_u32 s11, 0x12f
	s_cbranch_scc0 .LBB0_1334
.LBB0_311:
	s_cmpk_lt_u32 s11, 0x130
	s_cbranch_scc0 .LBB0_1335
.LBB0_312:
	s_cmpk_lt_u32 s11, 0x131
	s_cbranch_scc0 .LBB0_1336
.LBB0_313:
	s_cmpk_lt_u32 s11, 0x132
	s_cbranch_scc0 .LBB0_1337
.LBB0_314:
	s_cmpk_lt_u32 s11, 0x133
	s_cbranch_scc0 .LBB0_1338
.LBB0_315:
	s_cmpk_lt_u32 s11, 0x134
	s_cbranch_scc0 .LBB0_1339
.LBB0_316:
	s_cmpk_lt_u32 s11, 0x135
	s_cbranch_scc0 .LBB0_1340
.LBB0_317:
	s_cmpk_lt_u32 s11, 0x136
	s_cbranch_scc0 .LBB0_1341
.LBB0_318:
	s_cmpk_lt_u32 s11, 0x137
	s_cbranch_scc0 .LBB0_1342
.LBB0_319:
	s_cmpk_lt_u32 s11, 0x138
	s_cbranch_scc0 .LBB0_1343
.LBB0_320:
	s_cmpk_lt_u32 s11, 0x139
	s_cbranch_scc0 .LBB0_1344
.LBB0_321:
	s_cmpk_lt_u32 s11, 0x13a
	s_cbranch_scc0 .LBB0_1345
.LBB0_322:
	s_cmpk_lt_u32 s11, 0x13b
	s_cbranch_scc0 .LBB0_1346
.LBB0_323:
	s_cmpk_lt_u32 s11, 0x13c
	s_cbranch_scc0 .LBB0_1347
.LBB0_324:
	s_cmpk_lt_u32 s11, 0x13d
	s_cbranch_scc0 .LBB0_1348
.LBB0_325:
	s_cmpk_lt_u32 s11, 0x13e
	s_cbranch_scc0 .LBB0_1349
.LBB0_326:
	s_cmpk_lt_u32 s11, 0x13f
	s_cbranch_scc0 .LBB0_1350
.LBB0_327:
	s_cmpk_lt_u32 s11, 0x140
	s_cbranch_scc0 .LBB0_1351
.LBB0_328:
	s_cmpk_lt_u32 s11, 0x141
	s_cbranch_scc0 .LBB0_1352
.LBB0_329:
	s_cmpk_lt_u32 s11, 0x142
	s_cbranch_scc0 .LBB0_1353
.LBB0_330:
	s_cmpk_lt_u32 s11, 0x143
	s_cbranch_scc0 .LBB0_1354
.LBB0_331:
	s_cmpk_lt_u32 s11, 0x144
	s_cbranch_scc0 .LBB0_1355
.LBB0_332:
	s_cmpk_lt_u32 s11, 0x145
	s_cbranch_scc0 .LBB0_1356
.LBB0_333:
	s_cmpk_lt_u32 s11, 0x146
	s_cbranch_scc0 .LBB0_1357
.LBB0_334:
	s_cmpk_lt_u32 s11, 0x147
	s_cbranch_scc0 .LBB0_1358
.LBB0_335:
	s_cmpk_lt_u32 s11, 0x148
	s_cbranch_scc0 .LBB0_1359
.LBB0_336:
	s_cmpk_lt_u32 s11, 0x149
	s_cbranch_scc0 .LBB0_1360
.LBB0_337:
	s_cmpk_lt_u32 s11, 0x14a
	s_cbranch_scc0 .LBB0_1361
.LBB0_338:
	s_cmpk_lt_u32 s11, 0x14b
	s_cbranch_scc0 .LBB0_1362
.LBB0_339:
	s_cmpk_lt_u32 s11, 0x14c
	s_cbranch_scc0 .LBB0_1363
.LBB0_340:
	s_cmpk_lt_u32 s11, 0x14d
	s_cbranch_scc0 .LBB0_1364
.LBB0_341:
	s_cmpk_lt_u32 s11, 0x14e
	s_cbranch_scc0 .LBB0_1365
.LBB0_342:
	s_cmpk_lt_u32 s11, 0x14f
	s_cbranch_scc0 .LBB0_1366
.LBB0_343:
	s_cmpk_lt_u32 s11, 0x150
	s_cbranch_scc0 .LBB0_1367
.LBB0_344:
	s_cmpk_lt_u32 s11, 0x151
	s_cbranch_scc0 .LBB0_1368
.LBB0_345:
	s_cmpk_lt_u32 s11, 0x152
	s_cbranch_scc0 .LBB0_1369
.LBB0_346:
	s_cmpk_lt_u32 s11, 0x153
	s_cbranch_scc0 .LBB0_1370
.LBB0_347:
	s_cmpk_lt_u32 s11, 0x154
	s_cbranch_scc0 .LBB0_1371
.LBB0_348:
	s_cmpk_lt_u32 s11, 0x155
	s_cbranch_scc0 .LBB0_1372
.LBB0_349:
	s_cmpk_lt_u32 s11, 0x156
	s_cbranch_scc0 .LBB0_1373
.LBB0_350:
	s_cmpk_lt_u32 s11, 0x157
	s_cbranch_scc0 .LBB0_1374
.LBB0_351:
	s_cmpk_lt_u32 s11, 0x158
	s_cbranch_scc0 .LBB0_1375
.LBB0_352:
	s_cmpk_lt_u32 s11, 0x159
	s_cbranch_scc0 .LBB0_1376
.LBB0_353:
	s_cmpk_lt_u32 s11, 0x15a
	s_cbranch_scc0 .LBB0_1377
.LBB0_354:
	s_cmpk_lt_u32 s11, 0x15b
	s_cbranch_scc0 .LBB0_1378
.LBB0_355:
	s_cmpk_lt_u32 s11, 0x15c
	s_cbranch_scc0 .LBB0_1379
.LBB0_356:
	s_cmpk_lt_u32 s11, 0x15d
	s_cbranch_scc0 .LBB0_1380
.LBB0_357:
	s_cmpk_lt_u32 s11, 0x15e
	s_cbranch_scc0 .LBB0_1381
.LBB0_358:
	s_cmpk_lt_u32 s11, 0x15f
	s_cbranch_scc0 .LBB0_1382
.LBB0_359:
	s_cmpk_lt_u32 s11, 0x160
	s_cbranch_scc0 .LBB0_1383
.LBB0_360:
	s_cmpk_lt_u32 s11, 0x161
	s_cbranch_scc0 .LBB0_1384
.LBB0_361:
	s_cmpk_lt_u32 s11, 0x162
	s_cbranch_scc0 .LBB0_1385
.LBB0_362:
	s_cmpk_lt_u32 s11, 0x163
	s_cbranch_scc0 .LBB0_1386
.LBB0_363:
	s_cmpk_lt_u32 s11, 0x164
	s_cbranch_scc0 .LBB0_1387
.LBB0_364:
	s_cmpk_lt_u32 s11, 0x165
	s_cbranch_scc0 .LBB0_1388
.LBB0_365:
	s_cmpk_lt_u32 s11, 0x166
	s_cbranch_scc0 .LBB0_1389
.LBB0_366:
	s_cmpk_lt_u32 s11, 0x167
	s_cbranch_scc0 .LBB0_1390
.LBB0_367:
	s_cmpk_lt_u32 s11, 0x168
	s_cbranch_scc0 .LBB0_1391
.LBB0_368:
	s_cmpk_lt_u32 s11, 0x169
	s_cbranch_scc0 .LBB0_1392
.LBB0_369:
	s_cmpk_lt_u32 s11, 0x16a
	s_cbranch_scc0 .LBB0_1393
.LBB0_370:
	s_cmpk_lt_u32 s11, 0x16b
	s_cbranch_scc0 .LBB0_1394
.LBB0_371:
	s_cmpk_lt_u32 s11, 0x16c
	s_cbranch_scc0 .LBB0_1395
.LBB0_372:
	s_cmpk_lt_u32 s11, 0x16d
	s_cbranch_scc0 .LBB0_1396
.LBB0_373:
	s_cmpk_lt_u32 s11, 0x16e
	s_cbranch_scc0 .LBB0_1397
.LBB0_374:
	s_cmpk_lt_u32 s11, 0x16f
	s_cbranch_scc0 .LBB0_1398
.LBB0_375:
	s_cmpk_lt_u32 s11, 0x170
	s_cbranch_scc0 .LBB0_1399
.LBB0_376:
	s_cmpk_lt_u32 s11, 0x171
	s_cbranch_scc0 .LBB0_1400
.LBB0_377:
	s_cmpk_lt_u32 s11, 0x172
	s_cbranch_scc0 .LBB0_1401
.LBB0_378:
	s_cmpk_lt_u32 s11, 0x173
	s_cbranch_scc0 .LBB0_1402
.LBB0_379:
	s_cmpk_lt_u32 s11, 0x174
	s_cbranch_scc0 .LBB0_1403
.LBB0_380:
	s_cmpk_lt_u32 s11, 0x175
	s_cbranch_scc0 .LBB0_1404
.LBB0_381:
	s_cmpk_lt_u32 s11, 0x176
	s_cbranch_scc0 .LBB0_1405
.LBB0_382:
	s_cmpk_lt_u32 s11, 0x177
	s_cbranch_scc0 .LBB0_1406
.LBB0_383:
	s_cmpk_lt_u32 s11, 0x178
	s_cbranch_scc0 .LBB0_1407
.LBB0_384:
	s_cmpk_lt_u32 s11, 0x179
	s_cbranch_scc0 .LBB0_1408
.LBB0_385:
	s_cmpk_lt_u32 s11, 0x17a
	s_cbranch_scc0 .LBB0_1409
.LBB0_386:
	s_cmpk_lt_u32 s11, 0x17b
	s_cbranch_scc0 .LBB0_1410
.LBB0_387:
	s_cmpk_lt_u32 s11, 0x17c
	s_cbranch_scc0 .LBB0_1411
.LBB0_388:
	s_cmpk_lt_u32 s11, 0x17d
	s_cbranch_scc0 .LBB0_1412
.LBB0_389:
	s_cmpk_lt_u32 s11, 0x17e
	s_cbranch_scc0 .LBB0_1413
.LBB0_390:
	s_cmpk_lt_u32 s11, 0x17f
	s_cbranch_scc0 .LBB0_1414
.LBB0_391:
	s_cmpk_lt_u32 s11, 0x180
	s_cbranch_scc0 .LBB0_1415
.LBB0_392:
	s_cmpk_lt_u32 s11, 0x181
	s_cbranch_scc0 .LBB0_1416
.LBB0_393:
	s_cmpk_lt_u32 s11, 0x182
	s_cbranch_scc0 .LBB0_1417
.LBB0_394:
	s_cmpk_lt_u32 s11, 0x183
	s_cbranch_scc0 .LBB0_1418
.LBB0_395:
	s_cmpk_lt_u32 s11, 0x184
	s_cbranch_scc0 .LBB0_1419
.LBB0_396:
	s_cmpk_lt_u32 s11, 0x185
	s_cbranch_scc0 .LBB0_1420
.LBB0_397:
	s_cmpk_lt_u32 s11, 0x186
	s_cbranch_scc0 .LBB0_1421
.LBB0_398:
	s_cmpk_lt_u32 s11, 0x187
	s_cbranch_scc0 .LBB0_1422
.LBB0_399:
	s_cmpk_lt_u32 s11, 0x188
	s_cbranch_scc0 .LBB0_1423
.LBB0_400:
	s_cmpk_lt_u32 s11, 0x189
	s_cbranch_scc0 .LBB0_1424
.LBB0_401:
	s_cmpk_lt_u32 s11, 0x18a
	s_cbranch_scc0 .LBB0_1425
.LBB0_402:
	s_cmpk_lt_u32 s11, 0x18b
	s_cbranch_scc0 .LBB0_1426
.LBB0_403:
	s_cmpk_lt_u32 s11, 0x18c
	s_cbranch_scc0 .LBB0_1427
.LBB0_404:
	s_cmpk_lt_u32 s11, 0x18d
	s_cbranch_scc0 .LBB0_1428
.LBB0_405:
	s_cmpk_lt_u32 s11, 0x18e
	s_cbranch_scc0 .LBB0_1429
.LBB0_406:
	s_cmpk_lt_u32 s11, 0x18f
	s_cbranch_scc0 .LBB0_1430
.LBB0_407:
	s_cmpk_lt_u32 s11, 0x190
	s_cbranch_scc0 .LBB0_1431
.LBB0_408:
	s_cmpk_lt_u32 s11, 0x191
	s_cbranch_scc0 .LBB0_1432
.LBB0_409:
	s_cmpk_lt_u32 s11, 0x192
	s_cbranch_scc0 .LBB0_1433
.LBB0_410:
	s_cmpk_lt_u32 s11, 0x193
	s_cbranch_scc0 .LBB0_1434
.LBB0_411:
	s_cmpk_lt_u32 s11, 0x194
	s_cbranch_scc0 .LBB0_1435
.LBB0_412:
	s_cmpk_lt_u32 s11, 0x195
	s_cbranch_scc0 .LBB0_1436
.LBB0_413:
	s_cmpk_lt_u32 s11, 0x196
	s_cbranch_scc0 .LBB0_1437
.LBB0_414:
	s_cmpk_lt_u32 s11, 0x197
	s_cbranch_scc0 .LBB0_1438
.LBB0_415:
	s_cmpk_lt_u32 s11, 0x198
	s_cbranch_scc0 .LBB0_1439
.LBB0_416:
	s_cmpk_lt_u32 s11, 0x199
	s_cbranch_scc0 .LBB0_1440
.LBB0_417:
	s_cmpk_lt_u32 s11, 0x19a
	s_cbranch_scc0 .LBB0_1441
.LBB0_418:
	s_cmpk_lt_u32 s11, 0x19b
	s_cbranch_scc0 .LBB0_1442
.LBB0_419:
	s_cmpk_lt_u32 s11, 0x19c
	s_cbranch_scc0 .LBB0_1443
.LBB0_420:
	s_cmpk_lt_u32 s11, 0x19d
	s_cbranch_scc0 .LBB0_1444
.LBB0_421:
	s_cmpk_lt_u32 s11, 0x19e
	s_cbranch_scc0 .LBB0_1445
.LBB0_422:
	s_cmpk_lt_u32 s11, 0x19f
	s_cbranch_scc0 .LBB0_1446
.LBB0_423:
	s_cmpk_lt_u32 s11, 0x1a0
	s_cbranch_scc0 .LBB0_1447
.LBB0_424:
	s_cmpk_lt_u32 s11, 0x1a1
	s_cbranch_scc0 .LBB0_1448
.LBB0_425:
	s_cmpk_lt_u32 s11, 0x1a2
	s_cbranch_scc0 .LBB0_1449
.LBB0_426:
	s_cmpk_lt_u32 s11, 0x1a3
	s_cbranch_scc0 .LBB0_1450
.LBB0_427:
	s_cmpk_lt_u32 s11, 0x1a4
	s_cbranch_scc0 .LBB0_1451
.LBB0_428:
	s_cmpk_lt_u32 s11, 0x1a5
	s_cbranch_scc0 .LBB0_1452
.LBB0_429:
	s_cmpk_lt_u32 s11, 0x1a6
	s_cbranch_scc0 .LBB0_1453
.LBB0_430:
	s_cmpk_lt_u32 s11, 0x1a7
	s_cbranch_scc0 .LBB0_1454
.LBB0_431:
	s_cmpk_lt_u32 s11, 0x1a8
	s_cbranch_scc0 .LBB0_1455
.LBB0_432:
	s_cmpk_lt_u32 s11, 0x1a9
	s_cbranch_scc0 .LBB0_1456
.LBB0_433:
	s_cmpk_lt_u32 s11, 0x1aa
	s_cbranch_scc0 .LBB0_1457
.LBB0_434:
	s_cmpk_lt_u32 s11, 0x1ab
	s_cbranch_scc0 .LBB0_1458
.LBB0_435:
	s_cmpk_lt_u32 s11, 0x1ac
	s_cbranch_scc0 .LBB0_1459
.LBB0_436:
	s_cmpk_lt_u32 s11, 0x1ad
	s_cbranch_scc0 .LBB0_1460
.LBB0_437:
	s_cmpk_lt_u32 s11, 0x1ae
	s_cbranch_scc0 .LBB0_1461
.LBB0_438:
	s_cmpk_lt_u32 s11, 0x1af
	s_cbranch_scc0 .LBB0_1462
.LBB0_439:
	s_cmpk_lt_u32 s11, 0x1b0
	s_cbranch_scc0 .LBB0_1463
.LBB0_440:
	s_cmpk_lt_u32 s11, 0x1b1
	s_cbranch_scc0 .LBB0_1464
.LBB0_441:
	s_cmpk_lt_u32 s11, 0x1b2
	s_cbranch_scc0 .LBB0_1465
.LBB0_442:
	s_cmpk_lt_u32 s11, 0x1b3
	s_cbranch_scc0 .LBB0_1466
.LBB0_443:
	s_cmpk_lt_u32 s11, 0x1b4
	s_cbranch_scc0 .LBB0_1467
.LBB0_444:
	s_cmpk_lt_u32 s11, 0x1b5
	s_cbranch_scc0 .LBB0_1468
.LBB0_445:
	s_cmpk_lt_u32 s11, 0x1b6
	s_cbranch_scc0 .LBB0_1469
.LBB0_446:
	s_cmpk_lt_u32 s11, 0x1b7
	s_cbranch_scc0 .LBB0_1470
.LBB0_447:
	s_cmpk_lt_u32 s11, 0x1b8
	s_cbranch_scc0 .LBB0_1471
.LBB0_448:
	s_cmpk_lt_u32 s11, 0x1b9
	s_cbranch_scc0 .LBB0_1472
.LBB0_449:
	s_cmpk_lt_u32 s11, 0x1ba
	s_cbranch_scc0 .LBB0_1473
.LBB0_450:
	s_cmpk_lt_u32 s11, 0x1bb
	s_cbranch_scc0 .LBB0_1474
.LBB0_451:
	s_cmpk_lt_u32 s11, 0x1bc
	s_cbranch_scc0 .LBB0_1475
.LBB0_452:
	s_cmpk_lt_u32 s11, 0x1bd
	s_cbranch_scc0 .LBB0_1476
.LBB0_453:
	s_cmpk_lt_u32 s11, 0x1be
	s_cbranch_scc0 .LBB0_1477
.LBB0_454:
	s_cmpk_lt_u32 s11, 0x1bf
	s_cbranch_scc0 .LBB0_1478
.LBB0_455:
	s_cmpk_lt_u32 s11, 0x1c0
	s_cbranch_scc0 .LBB0_1479
.LBB0_456:
	s_cmpk_lt_u32 s11, 0x1c1
	s_cbranch_scc0 .LBB0_1480
.LBB0_457:
	s_cmpk_lt_u32 s11, 0x1c2
	s_cbranch_scc0 .LBB0_1481
.LBB0_458:
	s_cmpk_lt_u32 s11, 0x1c3
	s_cbranch_scc0 .LBB0_1482
.LBB0_459:
	s_cmpk_lt_u32 s11, 0x1c4
	s_cbranch_scc0 .LBB0_1483
.LBB0_460:
	s_cmpk_lt_u32 s11, 0x1c5
	s_cbranch_scc0 .LBB0_1484
.LBB0_461:
	s_cmpk_lt_u32 s11, 0x1c6
	s_cbranch_scc0 .LBB0_1485
.LBB0_462:
	s_cmpk_lt_u32 s11, 0x1c7
	s_cbranch_scc0 .LBB0_1486
.LBB0_463:
	s_cmpk_lt_u32 s11, 0x1c8
	s_cbranch_scc0 .LBB0_1487
.LBB0_464:
	s_cmpk_lt_u32 s11, 0x1c9
	s_cbranch_scc0 .LBB0_1488
.LBB0_465:
	s_cmpk_lt_u32 s11, 0x1ca
	s_cbranch_scc0 .LBB0_1489
.LBB0_466:
	s_cmpk_lt_u32 s11, 0x1cb
	s_cbranch_scc0 .LBB0_1490
.LBB0_467:
	s_cmpk_lt_u32 s11, 0x1cc
	s_cbranch_scc0 .LBB0_1491
.LBB0_468:
	s_cmpk_lt_u32 s11, 0x1cd
	s_cbranch_scc0 .LBB0_1492
.LBB0_469:
	s_cmpk_lt_u32 s11, 0x1ce
	s_cbranch_scc0 .LBB0_1493
.LBB0_470:
	s_cmpk_lt_u32 s11, 0x1cf
	s_cbranch_scc0 .LBB0_1494
.LBB0_471:
	s_cmpk_lt_u32 s11, 0x1d0
	s_cbranch_scc0 .LBB0_1495
.LBB0_472:
	s_cmpk_lt_u32 s11, 0x1d1
	s_cbranch_scc0 .LBB0_1496
.LBB0_473:
	s_cmpk_lt_u32 s11, 0x1d2
	s_cbranch_scc0 .LBB0_1497
.LBB0_474:
	s_cmpk_lt_u32 s11, 0x1d3
	s_cbranch_scc0 .LBB0_1498
.LBB0_475:
	s_cmpk_lt_u32 s11, 0x1d4
	s_cbranch_scc0 .LBB0_1499
.LBB0_476:
	s_cmpk_lt_u32 s11, 0x1d5
	s_cbranch_scc0 .LBB0_1500
.LBB0_477:
	s_cmpk_lt_u32 s11, 0x1d6
	s_cbranch_scc0 .LBB0_1501
.LBB0_478:
	s_cmpk_lt_u32 s11, 0x1d7
	s_cbranch_scc0 .LBB0_1502
.LBB0_479:
	s_cmpk_lt_u32 s11, 0x1d8
	s_cbranch_scc0 .LBB0_1503
.LBB0_480:
	s_cmpk_lt_u32 s11, 0x1d9
	s_cbranch_scc0 .LBB0_1504
.LBB0_481:
	s_cmpk_lt_u32 s11, 0x1da
	s_cbranch_scc0 .LBB0_1505
.LBB0_482:
	s_cmpk_lt_u32 s11, 0x1db
	s_cbranch_scc0 .LBB0_1506
.LBB0_483:
	s_cmpk_lt_u32 s11, 0x1dc
	s_cbranch_scc0 .LBB0_1507
.LBB0_484:
	s_cmpk_lt_u32 s11, 0x1dd
	s_cbranch_scc0 .LBB0_1508
.LBB0_485:
	s_cmpk_lt_u32 s11, 0x1de
	s_cbranch_scc0 .LBB0_1509
.LBB0_486:
	s_cmpk_lt_u32 s11, 0x1df
	s_cbranch_scc0 .LBB0_1510
.LBB0_487:
	s_cmpk_lt_u32 s11, 0x1e0
	s_cbranch_scc0 .LBB0_1511
.LBB0_488:
	s_cmpk_lt_u32 s11, 0x1e1
	s_cbranch_scc0 .LBB0_1512
.LBB0_489:
	s_cmpk_lt_u32 s11, 0x1e2
	s_cbranch_scc0 .LBB0_1513
.LBB0_490:
	s_cmpk_lt_u32 s11, 0x1e3
	s_cbranch_scc0 .LBB0_1514
.LBB0_491:
	s_cmpk_lt_u32 s11, 0x1e4
	s_cbranch_scc0 .LBB0_1515
.LBB0_492:
	s_cmpk_lt_u32 s11, 0x1e5
	s_cbranch_scc0 .LBB0_1516
.LBB0_493:
	s_cmpk_lt_u32 s11, 0x1e6
	s_cbranch_scc0 .LBB0_1517
.LBB0_494:
	s_cmpk_lt_u32 s11, 0x1e7
	s_cbranch_scc0 .LBB0_1518
.LBB0_495:
	s_cmpk_lt_u32 s11, 0x1e8
	s_cbranch_scc0 .LBB0_1519
.LBB0_496:
	s_cmpk_lt_u32 s11, 0x1e9
	s_cbranch_scc0 .LBB0_1520
.LBB0_497:
	s_cmpk_lt_u32 s11, 0x1ea
	s_cbranch_scc0 .LBB0_1521
.LBB0_498:
	s_cmpk_lt_u32 s11, 0x1eb
	s_cbranch_scc0 .LBB0_1522
.LBB0_499:
	s_cmpk_lt_u32 s11, 0x1ec
	s_cbranch_scc0 .LBB0_1523
.LBB0_500:
	s_cmpk_lt_u32 s11, 0x1ed
	s_cbranch_scc0 .LBB0_1524
.LBB0_501:
	s_cmpk_lt_u32 s11, 0x1ee
	s_cbranch_scc0 .LBB0_1525
.LBB0_502:
	s_cmpk_lt_u32 s11, 0x1ef
	s_cbranch_scc0 .LBB0_1526
.LBB0_503:
	s_cmpk_lt_u32 s11, 0x1f0
	s_cbranch_scc0 .LBB0_1527
.LBB0_504:
	s_cmpk_lt_u32 s11, 0x1f1
	s_cbranch_scc0 .LBB0_1528
.LBB0_505:
	s_cmpk_lt_u32 s11, 0x1f2
	s_cbranch_scc0 .LBB0_1529
.LBB0_506:
	s_cmpk_lt_u32 s11, 0x1f3
	s_cbranch_scc0 .LBB0_1530
.LBB0_507:
	s_cmpk_lt_u32 s11, 0x1f4
	s_cbranch_scc0 .LBB0_1531
.LBB0_508:
	s_cmpk_lt_u32 s11, 0x1f5
	s_cbranch_scc0 .LBB0_1532
.LBB0_509:
	s_cmpk_lt_u32 s11, 0x1f6
	s_cbranch_scc0 .LBB0_1533
.LBB0_510:
	s_cmpk_lt_u32 s11, 0x1f7
	s_cbranch_scc0 .LBB0_1534
.LBB0_511:
	s_cmpk_lt_u32 s11, 0x1f8
	s_cbranch_scc0 .LBB0_1535
.LBB0_512:
	s_cmpk_lt_u32 s11, 0x1f9
	s_cbranch_scc0 .LBB0_1536
.LBB0_513:
	s_cmpk_lt_u32 s11, 0x1fa
	s_cbranch_scc0 .LBB0_1537
.LBB0_514:
	s_cmpk_lt_u32 s11, 0x1fb
	s_cbranch_scc0 .LBB0_1538
.LBB0_515:
	s_cmpk_lt_u32 s11, 0x1fc
	s_cbranch_scc0 .LBB0_1539
.LBB0_516:
	s_cmpk_lt_u32 s11, 0x1fd
	s_cbranch_scc0 .LBB0_1540
.LBB0_517:
	s_cmpk_lt_u32 s11, 0x1fe
	s_cbranch_scc0 .LBB0_1541
.LBB0_518:
	s_cmpk_lt_u32 s11, 0x1ff
	s_cbranch_scc0 .LBB0_1542
.LBB0_519:
	s_cmpk_lt_u32 s11, 0x200
	s_cbranch_scc0 .LBB0_1543
.LBB0_520:
	s_cmpk_lt_u32 s11, 0x201
	s_cbranch_scc0 .LBB0_1544
.LBB0_521:
	s_cmpk_lt_u32 s11, 0x202
	s_cbranch_scc0 .LBB0_1545
.LBB0_522:
	s_cmpk_lt_u32 s11, 0x203
	s_cbranch_scc0 .LBB0_1546
.LBB0_523:
	s_cmpk_lt_u32 s11, 0x204
	s_cbranch_scc0 .LBB0_1547
.LBB0_524:
	s_cmpk_lt_u32 s11, 0x205
	s_cbranch_scc0 .LBB0_1548
.LBB0_525:
	s_cmpk_lt_u32 s11, 0x206
	s_cbranch_scc0 .LBB0_1549
.LBB0_526:
	s_cmpk_lt_u32 s11, 0x207
	s_cbranch_scc0 .LBB0_1550
.LBB0_527:
	s_cmpk_lt_u32 s11, 0x208
	s_cbranch_scc0 .LBB0_1551
.LBB0_528:
	s_cmpk_lt_u32 s11, 0x209
	s_cbranch_scc0 .LBB0_1552
.LBB0_529:
	s_cmpk_lt_u32 s11, 0x20a
	s_cbranch_scc0 .LBB0_1553
.LBB0_530:
	s_cmpk_lt_u32 s11, 0x20b
	s_cbranch_scc0 .LBB0_1554
.LBB0_531:
	s_cmpk_lt_u32 s11, 0x20c
	s_cbranch_scc0 .LBB0_1555
.LBB0_532:
	s_cmpk_lt_u32 s11, 0x20d
	s_cbranch_scc0 .LBB0_1556
.LBB0_533:
	s_cmpk_lt_u32 s11, 0x20e
	s_cbranch_scc0 .LBB0_1557
.LBB0_534:
	s_cmpk_lt_u32 s11, 0x20f
	s_cbranch_scc0 .LBB0_1558
.LBB0_535:
	s_cmpk_lt_u32 s11, 0x210
	s_cbranch_scc0 .LBB0_1559
.LBB0_536:
	s_cmpk_lt_u32 s11, 0x211
	s_cbranch_scc0 .LBB0_1560
.LBB0_537:
	s_cmpk_lt_u32 s11, 0x212
	s_cbranch_scc0 .LBB0_1561
.LBB0_538:
	s_cmpk_lt_u32 s11, 0x213
	s_cbranch_scc0 .LBB0_1562
.LBB0_539:
	s_cmpk_lt_u32 s11, 0x214
	s_cbranch_scc0 .LBB0_1563
.LBB0_540:
	s_cmpk_lt_u32 s11, 0x215
	s_cbranch_scc0 .LBB0_1564
.LBB0_541:
	s_cmpk_lt_u32 s11, 0x216
	s_cbranch_scc0 .LBB0_1565
.LBB0_542:
	s_cmpk_lt_u32 s11, 0x217
	s_cbranch_scc0 .LBB0_1566
.LBB0_543:
	s_cmpk_lt_u32 s11, 0x218
	s_cbranch_scc0 .LBB0_1567
.LBB0_544:
	s_cmpk_lt_u32 s11, 0x219
	s_cbranch_scc0 .LBB0_1568
.LBB0_545:
	s_cmpk_lt_u32 s11, 0x21a
	s_cbranch_scc0 .LBB0_1569
.LBB0_546:
	s_cmpk_lt_u32 s11, 0x21b
	s_cbranch_scc0 .LBB0_1570
.LBB0_547:
	s_cmpk_lt_u32 s11, 0x21c
	s_cbranch_scc0 .LBB0_1571
.LBB0_548:
	s_cmpk_lt_u32 s11, 0x21d
	s_cbranch_scc0 .LBB0_1572
.LBB0_549:
	s_cmpk_lt_u32 s11, 0x21e
	s_cbranch_scc0 .LBB0_1573
.LBB0_550:
	s_cmpk_lt_u32 s11, 0x21f
	s_cbranch_scc0 .LBB0_1574
.LBB0_551:
	s_cmpk_lt_u32 s11, 0x220
	s_cbranch_scc0 .LBB0_1575
.LBB0_552:
	s_cmpk_lt_u32 s11, 0x221
	s_cbranch_scc0 .LBB0_1576
.LBB0_553:
	s_cmpk_lt_u32 s11, 0x222
	s_cbranch_scc0 .LBB0_1577
.LBB0_554:
	s_cmpk_lt_u32 s11, 0x223
	s_cbranch_scc0 .LBB0_1578
.LBB0_555:
	s_cmpk_lt_u32 s11, 0x224
	s_cbranch_scc0 .LBB0_1579
.LBB0_556:
	s_cmpk_lt_u32 s11, 0x225
	s_cbranch_scc0 .LBB0_1580
.LBB0_557:
	s_cmpk_lt_u32 s11, 0x226
	s_cbranch_scc0 .LBB0_1581
.LBB0_558:
	s_cmpk_lt_u32 s11, 0x227
	s_cbranch_scc0 .LBB0_1582
.LBB0_559:
	s_cmpk_lt_u32 s11, 0x228
	s_cbranch_scc0 .LBB0_1583
.LBB0_560:
	s_cmpk_lt_u32 s11, 0x229
	s_cbranch_scc0 .LBB0_1584
.LBB0_561:
	s_cmpk_lt_u32 s11, 0x22a
	s_cbranch_scc0 .LBB0_1585
.LBB0_562:
	s_cmpk_lt_u32 s11, 0x22b
	s_cbranch_scc0 .LBB0_1586
.LBB0_563:
	s_cmpk_lt_u32 s11, 0x22c
	s_cbranch_scc0 .LBB0_1587
.LBB0_564:
	s_cmpk_lt_u32 s11, 0x22d
	s_cbranch_scc0 .LBB0_1588
.LBB0_565:
	s_cmpk_lt_u32 s11, 0x22e
	s_cbranch_scc0 .LBB0_1589
.LBB0_566:
	s_cmpk_lt_u32 s11, 0x22f
	s_cbranch_scc0 .LBB0_1590
.LBB0_567:
	s_cmpk_lt_u32 s11, 0x230
	s_cbranch_scc0 .LBB0_1591
.LBB0_568:
	s_cmpk_lt_u32 s11, 0x231
	s_cbranch_scc0 .LBB0_1592
.LBB0_569:
	s_cmpk_lt_u32 s11, 0x232
	s_cbranch_scc0 .LBB0_1593
.LBB0_570:
	s_cmpk_lt_u32 s11, 0x233
	s_cbranch_scc0 .LBB0_1594
.LBB0_571:
	s_cmpk_lt_u32 s11, 0x234
	s_cbranch_scc0 .LBB0_1595
.LBB0_572:
	s_cmpk_lt_u32 s11, 0x235
	s_cbranch_scc0 .LBB0_1596
.LBB0_573:
	s_cmpk_lt_u32 s11, 0x236
	s_cbranch_scc0 .LBB0_1597
.LBB0_574:
	s_cmpk_lt_u32 s11, 0x237
	s_cbranch_scc0 .LBB0_1598
.LBB0_575:
	s_cmpk_lt_u32 s11, 0x238
	s_cbranch_scc0 .LBB0_1599
.LBB0_576:
	s_cmpk_lt_u32 s11, 0x239
	s_cbranch_scc0 .LBB0_1600
.LBB0_577:
	s_cmpk_lt_u32 s11, 0x23a
	s_cbranch_scc0 .LBB0_1601
.LBB0_578:
	s_cmpk_lt_u32 s11, 0x23b
	s_cbranch_scc0 .LBB0_1602
.LBB0_579:
	s_cmpk_lt_u32 s11, 0x23c
	s_cbranch_scc0 .LBB0_1603
.LBB0_580:
	s_cmpk_lt_u32 s11, 0x23d
	s_cbranch_scc0 .LBB0_1604
.LBB0_581:
	s_cmpk_lt_u32 s11, 0x23e
	s_cbranch_scc0 .LBB0_1605
.LBB0_582:
	s_cmpk_lt_u32 s11, 0x23f
	s_cbranch_scc0 .LBB0_1606
.LBB0_583:
	s_cmpk_lt_u32 s11, 0x240
	s_cbranch_scc0 .LBB0_1607
.LBB0_584:
	s_cmpk_lt_u32 s11, 0x241
	s_cbranch_scc0 .LBB0_1608
.LBB0_585:
	s_cmpk_lt_u32 s11, 0x242
	s_cbranch_scc0 .LBB0_1609
.LBB0_586:
	s_cmpk_lt_u32 s11, 0x243
	s_cbranch_scc0 .LBB0_1610
.LBB0_587:
	s_cmpk_lt_u32 s11, 0x244
	s_cbranch_scc0 .LBB0_1611
.LBB0_588:
	s_cmpk_lt_u32 s11, 0x245
	s_cbranch_scc0 .LBB0_1612
.LBB0_589:
	s_cmpk_lt_u32 s11, 0x246
	s_cbranch_scc0 .LBB0_1613
.LBB0_590:
	s_cmpk_lt_u32 s11, 0x247
	s_cbranch_scc0 .LBB0_1614
.LBB0_591:
	s_cmpk_lt_u32 s11, 0x248
	s_cbranch_scc0 .LBB0_1615
.LBB0_592:
	s_cmpk_lt_u32 s11, 0x249
	s_cbranch_scc0 .LBB0_1616
.LBB0_593:
	s_cmpk_lt_u32 s11, 0x24a
	s_cbranch_scc0 .LBB0_1617
.LBB0_594:
	s_cmpk_lt_u32 s11, 0x24b
	s_cbranch_scc0 .LBB0_1618
.LBB0_595:
	s_cmpk_lt_u32 s11, 0x24c
	s_cbranch_scc0 .LBB0_1619
.LBB0_596:
	s_cmpk_lt_u32 s11, 0x24d
	s_cbranch_scc0 .LBB0_1620
.LBB0_597:
	s_cmpk_lt_u32 s11, 0x24e
	s_cbranch_scc0 .LBB0_1621
.LBB0_598:
	s_cmpk_lt_u32 s11, 0x24f
	s_cbranch_scc0 .LBB0_1622
.LBB0_599:
	s_cmpk_lt_u32 s11, 0x250
	s_cbranch_scc0 .LBB0_1623
.LBB0_600:
	s_cmpk_lt_u32 s11, 0x251
	s_cbranch_scc0 .LBB0_1624
.LBB0_601:
	s_cmpk_lt_u32 s11, 0x252
	s_cbranch_scc0 .LBB0_1625
.LBB0_602:
	s_cmpk_lt_u32 s11, 0x253
	s_cbranch_scc0 .LBB0_1626
.LBB0_603:
	s_cmpk_lt_u32 s11, 0x254
	s_cbranch_scc0 .LBB0_1627
.LBB0_604:
	s_cmpk_lt_u32 s11, 0x255
	s_cbranch_scc0 .LBB0_1628
.LBB0_605:
	s_cmpk_lt_u32 s11, 0x256
	s_cbranch_scc0 .LBB0_1629
.LBB0_606:
	s_cmpk_lt_u32 s11, 0x257
	s_cbranch_scc0 .LBB0_1630
.LBB0_607:
	s_cmpk_lt_u32 s11, 0x258
	s_cbranch_scc0 .LBB0_1631
.LBB0_608:
	s_cmpk_lt_u32 s11, 0x259
	s_cbranch_scc0 .LBB0_1632
.LBB0_609:
	s_cmpk_lt_u32 s11, 0x25a
	s_cbranch_scc0 .LBB0_1633
.LBB0_610:
	s_cmpk_lt_u32 s11, 0x25b
	s_cbranch_scc0 .LBB0_1634
.LBB0_611:
	s_cmpk_lt_u32 s11, 0x25c
	s_cbranch_scc0 .LBB0_1635
.LBB0_612:
	s_cmpk_lt_u32 s11, 0x25d
	s_cbranch_scc0 .LBB0_1636
.LBB0_613:
	s_cmpk_lt_u32 s11, 0x25e
	s_cbranch_scc0 .LBB0_1637
.LBB0_614:
	s_cmpk_lt_u32 s11, 0x25f
	s_cbranch_scc0 .LBB0_1638
.LBB0_615:
	s_cmpk_lt_u32 s11, 0x260
	s_cbranch_scc0 .LBB0_1639
.LBB0_616:
	s_cmpk_lt_u32 s11, 0x261
	s_cbranch_scc0 .LBB0_1640
.LBB0_617:
	s_cmpk_lt_u32 s11, 0x262
	s_cbranch_scc0 .LBB0_1641
.LBB0_618:
	s_cmpk_lt_u32 s11, 0x263
	s_cbranch_scc0 .LBB0_1642
.LBB0_619:
	s_cmpk_lt_u32 s11, 0x264
	s_cbranch_scc0 .LBB0_1643
.LBB0_620:
	s_cmpk_lt_u32 s11, 0x265
	s_cbranch_scc0 .LBB0_1644
.LBB0_621:
	s_cmpk_lt_u32 s11, 0x266
	s_cbranch_scc0 .LBB0_1645
.LBB0_622:
	s_cmpk_lt_u32 s11, 0x267
	s_cbranch_scc0 .LBB0_1646
.LBB0_623:
	s_cmpk_lt_u32 s11, 0x268
	s_cbranch_scc0 .LBB0_1647
.LBB0_624:
	s_cmpk_lt_u32 s11, 0x269
	s_cbranch_scc0 .LBB0_1648
.LBB0_625:
	s_cmpk_lt_u32 s11, 0x26a
	s_cbranch_scc0 .LBB0_1649
.LBB0_626:
	s_cmpk_lt_u32 s11, 0x26b
	s_cbranch_scc0 .LBB0_1650
.LBB0_627:
	s_cmpk_lt_u32 s11, 0x26c
	s_cbranch_scc0 .LBB0_1651
.LBB0_628:
	s_cmpk_lt_u32 s11, 0x26d
	s_cbranch_scc0 .LBB0_1652
.LBB0_629:
	s_cmpk_lt_u32 s11, 0x26e
	s_cbranch_scc0 .LBB0_1653
.LBB0_630:
	s_cmpk_lt_u32 s11, 0x26f
	s_cbranch_scc0 .LBB0_1654
.LBB0_631:
	s_cmpk_lt_u32 s11, 0x270
	s_cbranch_scc0 .LBB0_1655
.LBB0_632:
	s_cmpk_lt_u32 s11, 0x271
	s_cbranch_scc0 .LBB0_1656
.LBB0_633:
	s_cmpk_lt_u32 s11, 0x272
	s_cbranch_scc0 .LBB0_1657
.LBB0_634:
	s_cmpk_lt_u32 s11, 0x273
	s_cbranch_scc0 .LBB0_1658
.LBB0_635:
	s_cmpk_lt_u32 s11, 0x274
	s_cbranch_scc0 .LBB0_1659
.LBB0_636:
	s_cmpk_lt_u32 s11, 0x275
	s_cbranch_scc0 .LBB0_1660
.LBB0_637:
	s_cmpk_lt_u32 s11, 0x276
	s_cbranch_scc0 .LBB0_1661
.LBB0_638:
	s_cmpk_lt_u32 s11, 0x277
	s_cbranch_scc0 .LBB0_1662
.LBB0_639:
	s_cmpk_lt_u32 s11, 0x278
	s_cbranch_scc0 .LBB0_1663
.LBB0_640:
	s_cmpk_lt_u32 s11, 0x279
	s_cbranch_scc0 .LBB0_1664
.LBB0_641:
	s_cmpk_lt_u32 s11, 0x27a
	s_cbranch_scc0 .LBB0_1665
.LBB0_642:
	s_cmpk_lt_u32 s11, 0x27b
	s_cbranch_scc0 .LBB0_1666
.LBB0_643:
	s_cmpk_lt_u32 s11, 0x27c
	s_cbranch_scc0 .LBB0_1667
.LBB0_644:
	s_cmpk_lt_u32 s11, 0x27d
	s_cbranch_scc0 .LBB0_1668
.LBB0_645:
	s_cmpk_lt_u32 s11, 0x27e
	s_cbranch_scc0 .LBB0_1669
.LBB0_646:
	s_cmpk_lt_u32 s11, 0x27f
	s_cbranch_scc0 .LBB0_1670
.LBB0_647:
	s_cmpk_lt_u32 s11, 0x280
	s_cbranch_scc0 .LBB0_1671
.LBB0_648:
	s_cmpk_lt_u32 s11, 0x281
	s_cbranch_scc0 .LBB0_1672
.LBB0_649:
	s_cmpk_lt_u32 s11, 0x282
	s_cbranch_scc0 .LBB0_1673
.LBB0_650:
	s_cmpk_lt_u32 s11, 0x283
	s_cbranch_scc0 .LBB0_1674
.LBB0_651:
	s_cmpk_lt_u32 s11, 0x284
	s_cbranch_scc0 .LBB0_1675
.LBB0_652:
	s_cmpk_lt_u32 s11, 0x285
	s_cbranch_scc0 .LBB0_1676
.LBB0_653:
	s_cmpk_lt_u32 s11, 0x286
	s_cbranch_scc0 .LBB0_1677
.LBB0_654:
	s_cmpk_lt_u32 s11, 0x287
	s_cbranch_scc0 .LBB0_1678
.LBB0_655:
	s_cmpk_lt_u32 s11, 0x288
	s_cbranch_scc0 .LBB0_1679
.LBB0_656:
	s_cmpk_lt_u32 s11, 0x289
	s_cbranch_scc0 .LBB0_1680
.LBB0_657:
	s_cmpk_lt_u32 s11, 0x28a
	s_cbranch_scc0 .LBB0_1681
.LBB0_658:
	s_cmpk_lt_u32 s11, 0x28b
	s_cbranch_scc0 .LBB0_1682
.LBB0_659:
	s_cmpk_lt_u32 s11, 0x28c
	s_cbranch_scc0 .LBB0_1683
.LBB0_660:
	s_cmpk_lt_u32 s11, 0x28d
	s_cbranch_scc0 .LBB0_1684
.LBB0_661:
	s_cmpk_lt_u32 s11, 0x28e
	s_cbranch_scc0 .LBB0_1685
.LBB0_662:
	s_cmpk_lt_u32 s11, 0x28f
	s_cbranch_scc0 .LBB0_1686
.LBB0_663:
	s_cmpk_lt_u32 s11, 0x290
	s_cbranch_scc0 .LBB0_1687
.LBB0_664:
	s_cmpk_lt_u32 s11, 0x291
	s_cbranch_scc0 .LBB0_1688
.LBB0_665:
	s_cmpk_lt_u32 s11, 0x292
	s_cbranch_scc0 .LBB0_1689
.LBB0_666:
	s_cmpk_lt_u32 s11, 0x293
	s_cbranch_scc0 .LBB0_1690
.LBB0_667:
	s_cmpk_lt_u32 s11, 0x294
	s_cbranch_scc0 .LBB0_1691
.LBB0_668:
	s_cmpk_lt_u32 s11, 0x295
	s_cbranch_scc0 .LBB0_1692
.LBB0_669:
	s_cmpk_lt_u32 s11, 0x296
	s_cbranch_scc0 .LBB0_1693
.LBB0_670:
	s_cmpk_lt_u32 s11, 0x297
	s_cbranch_scc0 .LBB0_1694
.LBB0_671:
	s_cmpk_lt_u32 s11, 0x298
	s_cbranch_scc0 .LBB0_1695
.LBB0_672:
	s_cmpk_lt_u32 s11, 0x299
	s_cbranch_scc0 .LBB0_1696
.LBB0_673:
	s_cmpk_lt_u32 s11, 0x29a
	s_cbranch_scc0 .LBB0_1697
.LBB0_674:
	s_cmpk_lt_u32 s11, 0x29b
	s_cbranch_scc0 .LBB0_1698
.LBB0_675:
	s_cmpk_lt_u32 s11, 0x29c
	s_cbranch_scc0 .LBB0_1699
.LBB0_676:
	s_cmpk_lt_u32 s11, 0x29d
	s_cbranch_scc0 .LBB0_1700
.LBB0_677:
	s_cmpk_lt_u32 s11, 0x29e
	s_cbranch_scc0 .LBB0_1701
.LBB0_678:
	s_cmpk_lt_u32 s11, 0x29f
	s_cbranch_scc0 .LBB0_1702
.LBB0_679:
	s_cmpk_lt_u32 s11, 0x2a0
	s_cbranch_scc0 .LBB0_1703
.LBB0_680:
	s_cmpk_lt_u32 s11, 0x2a1
	s_cbranch_scc0 .LBB0_1704
.LBB0_681:
	s_cmpk_lt_u32 s11, 0x2a2
	s_cbranch_scc0 .LBB0_1705
.LBB0_682:
	s_cmpk_lt_u32 s11, 0x2a3
	s_cbranch_scc0 .LBB0_1706
.LBB0_683:
	s_cmpk_lt_u32 s11, 0x2a4
	s_cbranch_scc0 .LBB0_1707
.LBB0_684:
	s_cmpk_lt_u32 s11, 0x2a5
	s_cbranch_scc0 .LBB0_1708
.LBB0_685:
	s_cmpk_lt_u32 s11, 0x2a6
	s_cbranch_scc0 .LBB0_1709
.LBB0_686:
	s_cmpk_lt_u32 s11, 0x2a7
	s_cbranch_scc0 .LBB0_1710
.LBB0_687:
	s_cmpk_lt_u32 s11, 0x2a8
	s_cbranch_scc0 .LBB0_1711
.LBB0_688:
	s_cmpk_lt_u32 s11, 0x2a9
	s_cbranch_scc0 .LBB0_1712
.LBB0_689:
	s_cmpk_lt_u32 s11, 0x2aa
	s_cbranch_scc0 .LBB0_1713
.LBB0_690:
	s_cmpk_lt_u32 s11, 0x2ab
	s_cbranch_scc0 .LBB0_1714
.LBB0_691:
	s_cmpk_lt_u32 s11, 0x2ac
	s_cbranch_scc0 .LBB0_1715
.LBB0_692:
	s_cmpk_lt_u32 s11, 0x2ad
	s_cbranch_scc0 .LBB0_1716
.LBB0_693:
	s_cmpk_lt_u32 s11, 0x2ae
	s_cbranch_scc0 .LBB0_1717
.LBB0_694:
	s_cmpk_lt_u32 s11, 0x2af
	s_cbranch_scc0 .LBB0_1718
.LBB0_695:
	s_cmpk_lt_u32 s11, 0x2b0
	s_cbranch_scc0 .LBB0_1719
.LBB0_696:
	s_cmpk_lt_u32 s11, 0x2b1
	s_cbranch_scc0 .LBB0_1720
.LBB0_697:
	s_cmpk_lt_u32 s11, 0x2b2
	s_cbranch_scc0 .LBB0_1721
.LBB0_698:
	s_cmpk_lt_u32 s11, 0x2b3
	s_cbranch_scc0 .LBB0_1722
.LBB0_699:
	s_cmpk_lt_u32 s11, 0x2b4
	s_cbranch_scc0 .LBB0_1723
.LBB0_700:
	s_cmpk_lt_u32 s11, 0x2b5
	s_cbranch_scc0 .LBB0_1724
.LBB0_701:
	s_cmpk_lt_u32 s11, 0x2b6
	s_cbranch_scc0 .LBB0_1725
.LBB0_702:
	s_cmpk_lt_u32 s11, 0x2b7
	s_cbranch_scc0 .LBB0_1726
.LBB0_703:
	s_cmpk_lt_u32 s11, 0x2b8
	s_cbranch_scc0 .LBB0_1727
.LBB0_704:
	s_cmpk_lt_u32 s11, 0x2b9
	s_cbranch_scc0 .LBB0_1728
.LBB0_705:
	s_cmpk_lt_u32 s11, 0x2ba
	s_cbranch_scc0 .LBB0_1729
.LBB0_706:
	s_cmpk_lt_u32 s11, 0x2bb
	s_cbranch_scc0 .LBB0_1730
.LBB0_707:
	s_cmpk_lt_u32 s11, 0x2bc
	s_cbranch_scc0 .LBB0_1731
.LBB0_708:
	s_cmpk_lt_u32 s11, 0x2bd
	s_cbranch_scc0 .LBB0_1732
.LBB0_709:
	s_cmpk_lt_u32 s11, 0x2be
	s_cbranch_scc0 .LBB0_1733
.LBB0_710:
	s_cmpk_lt_u32 s11, 0x2bf
	s_cbranch_scc0 .LBB0_1734
.LBB0_711:
	s_cmpk_lt_u32 s11, 0x2c0
	s_cbranch_scc0 .LBB0_1735
.LBB0_712:
	s_cmpk_lt_u32 s11, 0x2c1
	s_cbranch_scc0 .LBB0_1736
.LBB0_713:
	s_cmpk_lt_u32 s11, 0x2c2
	s_cbranch_scc0 .LBB0_1737
.LBB0_714:
	s_cmpk_lt_u32 s11, 0x2c3
	s_cbranch_scc0 .LBB0_1738
.LBB0_715:
	s_cmpk_lt_u32 s11, 0x2c4
	s_cbranch_scc0 .LBB0_1739
.LBB0_716:
	s_cmpk_lt_u32 s11, 0x2c5
	s_cbranch_scc0 .LBB0_1740
.LBB0_717:
	s_cmpk_lt_u32 s11, 0x2c6
	s_cbranch_scc0 .LBB0_1741
.LBB0_718:
	s_cmpk_lt_u32 s11, 0x2c7
	s_cbranch_scc0 .LBB0_1742
.LBB0_719:
	s_cmpk_lt_u32 s11, 0x2c8
	s_cbranch_scc0 .LBB0_1743
.LBB0_720:
	s_cmpk_lt_u32 s11, 0x2c9
	s_cbranch_scc0 .LBB0_1744
.LBB0_721:
	s_cmpk_lt_u32 s11, 0x2ca
	s_cbranch_scc0 .LBB0_1745
.LBB0_722:
	s_cmpk_lt_u32 s11, 0x2cb
	s_cbranch_scc0 .LBB0_1746
.LBB0_723:
	s_cmpk_lt_u32 s11, 0x2cc
	s_cbranch_scc0 .LBB0_1747
.LBB0_724:
	s_cmpk_lt_u32 s11, 0x2cd
	s_cbranch_scc0 .LBB0_1748
.LBB0_725:
	s_cmpk_lt_u32 s11, 0x2ce
	s_cbranch_scc0 .LBB0_1749
.LBB0_726:
	s_cmpk_lt_u32 s11, 0x2cf
	s_cbranch_scc0 .LBB0_1750
.LBB0_727:
	s_cmpk_lt_u32 s11, 0x2d0
	s_cbranch_scc0 .LBB0_1751
.LBB0_728:
	s_cmpk_lt_u32 s11, 0x2d1
	s_cbranch_scc0 .LBB0_1752
.LBB0_729:
	s_cmpk_lt_u32 s11, 0x2d2
	s_cbranch_scc0 .LBB0_1753
.LBB0_730:
	s_cmpk_lt_u32 s11, 0x2d3
	s_cbranch_scc0 .LBB0_1754
.LBB0_731:
	s_cmpk_lt_u32 s11, 0x2d4
	s_cbranch_scc0 .LBB0_1755
.LBB0_732:
	s_cmpk_lt_u32 s11, 0x2d5
	s_cbranch_scc0 .LBB0_1756
.LBB0_733:
	s_cmpk_lt_u32 s11, 0x2d6
	s_cbranch_scc0 .LBB0_1757
.LBB0_734:
	s_cmpk_lt_u32 s11, 0x2d7
	s_cbranch_scc0 .LBB0_1758
.LBB0_735:
	s_cmpk_lt_u32 s11, 0x2d8
	s_cbranch_scc0 .LBB0_1759
.LBB0_736:
	s_cmpk_lt_u32 s11, 0x2d9
	s_cbranch_scc0 .LBB0_1760
.LBB0_737:
	s_cmpk_lt_u32 s11, 0x2da
	s_cbranch_scc0 .LBB0_1761
.LBB0_738:
	s_cmpk_lt_u32 s11, 0x2db
	s_cbranch_scc0 .LBB0_1762
.LBB0_739:
	s_cmpk_lt_u32 s11, 0x2dc
	s_cbranch_scc0 .LBB0_1763
.LBB0_740:
	s_cmpk_lt_u32 s11, 0x2dd
	s_cbranch_scc0 .LBB0_1764
.LBB0_741:
	s_cmpk_lt_u32 s11, 0x2de
	s_cbranch_scc0 .LBB0_1765
.LBB0_742:
	s_cmpk_lt_u32 s11, 0x2df
	s_cbranch_scc0 .LBB0_1766
.LBB0_743:
	s_cmpk_lt_u32 s11, 0x2e0
	s_cbranch_scc0 .LBB0_1767
.LBB0_744:
	s_cmpk_lt_u32 s11, 0x2e1
	s_cbranch_scc0 .LBB0_1768
.LBB0_745:
	s_cmpk_lt_u32 s11, 0x2e2
	s_cbranch_scc0 .LBB0_1769
.LBB0_746:
	s_cmpk_lt_u32 s11, 0x2e3
	s_cbranch_scc0 .LBB0_1770
.LBB0_747:
	s_cmpk_lt_u32 s11, 0x2e4
	s_cbranch_scc0 .LBB0_1771
.LBB0_748:
	s_cmpk_lt_u32 s11, 0x2e5
	s_cbranch_scc0 .LBB0_1772
.LBB0_749:
	s_cmpk_lt_u32 s11, 0x2e6
	s_cbranch_scc0 .LBB0_1773
.LBB0_750:
	s_cmpk_lt_u32 s11, 0x2e7
	s_cbranch_scc0 .LBB0_1774
.LBB0_751:
	s_cmpk_lt_u32 s11, 0x2e8
	s_cbranch_scc0 .LBB0_1775
.LBB0_752:
	s_cmpk_lt_u32 s11, 0x2e9
	s_cbranch_scc0 .LBB0_1776
.LBB0_753:
	s_cmpk_lt_u32 s11, 0x2ea
	s_cbranch_scc0 .LBB0_1777
.LBB0_754:
	s_cmpk_lt_u32 s11, 0x2eb
	s_cbranch_scc0 .LBB0_1778
.LBB0_755:
	s_cmpk_lt_u32 s11, 0x2ec
	s_cbranch_scc0 .LBB0_1779
.LBB0_756:
	s_cmpk_lt_u32 s11, 0x2ed
	s_cbranch_scc0 .LBB0_1780
.LBB0_757:
	s_cmpk_lt_u32 s11, 0x2ee
	s_cbranch_scc0 .LBB0_1781
.LBB0_758:
	s_cmpk_lt_u32 s11, 0x2ef
	s_cbranch_scc0 .LBB0_1782
.LBB0_759:
	s_cmpk_lt_u32 s11, 0x2f0
	s_cbranch_scc0 .LBB0_1783
.LBB0_760:
	s_cmpk_lt_u32 s11, 0x2f1
	s_cbranch_scc0 .LBB0_1784
.LBB0_761:
	s_cmpk_lt_u32 s11, 0x2f2
	s_cbranch_scc0 .LBB0_1785
.LBB0_762:
	s_cmpk_lt_u32 s11, 0x2f3
	s_cbranch_scc0 .LBB0_1786
.LBB0_763:
	s_cmpk_lt_u32 s11, 0x2f4
	s_cbranch_scc0 .LBB0_1787
.LBB0_764:
	s_cmpk_lt_u32 s11, 0x2f5
	s_cbranch_scc0 .LBB0_1788
.LBB0_765:
	s_cmpk_lt_u32 s11, 0x2f6
	s_cbranch_scc0 .LBB0_1789
.LBB0_766:
	s_cmpk_lt_u32 s11, 0x2f7
	s_cbranch_scc0 .LBB0_1790
.LBB0_767:
	s_cmpk_lt_u32 s11, 0x2f8
	s_cbranch_scc0 .LBB0_1791
.LBB0_768:
	s_cmpk_lt_u32 s11, 0x2f9
	s_cbranch_scc0 .LBB0_1792
.LBB0_769:
	s_cmpk_lt_u32 s11, 0x2fa
	s_cbranch_scc0 .LBB0_1793
.LBB0_770:
	s_cmpk_lt_u32 s11, 0x2fb
	s_cbranch_scc0 .LBB0_1794
.LBB0_771:
	s_cmpk_lt_u32 s11, 0x2fc
	s_cbranch_scc0 .LBB0_1795
.LBB0_772:
	s_cmpk_lt_u32 s11, 0x2fd
	s_cbranch_scc0 .LBB0_1796
.LBB0_773:
	s_cmpk_lt_u32 s11, 0x2fe
	s_cbranch_scc0 .LBB0_1797
.LBB0_774:
	s_cmpk_lt_u32 s11, 0x2ff
	s_cbranch_scc0 .LBB0_1798
.LBB0_775:
	s_cmpk_lt_u32 s11, 0x300
	s_cbranch_scc0 .LBB0_1799
.LBB0_776:
	s_cmpk_lt_u32 s11, 0x301
	s_cbranch_scc0 .LBB0_1800
.LBB0_777:
	s_cmpk_lt_u32 s11, 0x302
	s_cbranch_scc0 .LBB0_1801
.LBB0_778:
	s_cmpk_lt_u32 s11, 0x303
	s_cbranch_scc0 .LBB0_1802
.LBB0_779:
	s_cmpk_lt_u32 s11, 0x304
	s_cbranch_scc0 .LBB0_1803
.LBB0_780:
	s_cmpk_lt_u32 s11, 0x305
	s_cbranch_scc0 .LBB0_1804
.LBB0_781:
	s_cmpk_lt_u32 s11, 0x306
	s_cbranch_scc0 .LBB0_1805
.LBB0_782:
	s_cmpk_lt_u32 s11, 0x307
	s_cbranch_scc0 .LBB0_1806
.LBB0_783:
	s_cmpk_lt_u32 s11, 0x308
	s_cbranch_scc0 .LBB0_1807
.LBB0_784:
	s_cmpk_lt_u32 s11, 0x309
	s_cbranch_scc0 .LBB0_1808
.LBB0_785:
	s_cmpk_lt_u32 s11, 0x30a
	s_cbranch_scc0 .LBB0_1809
.LBB0_786:
	s_cmpk_lt_u32 s11, 0x30b
	s_cbranch_scc0 .LBB0_1810
.LBB0_787:
	s_cmpk_lt_u32 s11, 0x30c
	s_cbranch_scc0 .LBB0_1811
.LBB0_788:
	s_cmpk_lt_u32 s11, 0x30d
	s_cbranch_scc0 .LBB0_1812
.LBB0_789:
	s_cmpk_lt_u32 s11, 0x30e
	s_cbranch_scc0 .LBB0_1813
.LBB0_790:
	s_cmpk_lt_u32 s11, 0x30f
	s_cbranch_scc0 .LBB0_1814
.LBB0_791:
	s_cmpk_lt_u32 s11, 0x310
	s_cbranch_scc0 .LBB0_1815
.LBB0_792:
	s_cmpk_lt_u32 s11, 0x311
	s_cbranch_scc0 .LBB0_1816
.LBB0_793:
	s_cmpk_lt_u32 s11, 0x312
	s_cbranch_scc0 .LBB0_1817
.LBB0_794:
	s_cmpk_lt_u32 s11, 0x313
	s_cbranch_scc0 .LBB0_1818
.LBB0_795:
	s_cmpk_lt_u32 s11, 0x314
	s_cbranch_scc0 .LBB0_1819
.LBB0_796:
	s_cmpk_lt_u32 s11, 0x315
	s_cbranch_scc0 .LBB0_1820
.LBB0_797:
	s_cmpk_lt_u32 s11, 0x316
	s_cbranch_scc0 .LBB0_1821
.LBB0_798:
	s_cmpk_lt_u32 s11, 0x317
	s_cbranch_scc0 .LBB0_1822
.LBB0_799:
	s_cmpk_lt_u32 s11, 0x318
	s_cbranch_scc0 .LBB0_1823
.LBB0_800:
	s_cmpk_lt_u32 s11, 0x319
	s_cbranch_scc0 .LBB0_1824
.LBB0_801:
	s_cmpk_lt_u32 s11, 0x31a
	s_cbranch_scc0 .LBB0_1825
.LBB0_802:
	s_cmpk_lt_u32 s11, 0x31b
	s_cbranch_scc0 .LBB0_1826
.LBB0_803:
	s_cmpk_lt_u32 s11, 0x31c
	s_cbranch_scc0 .LBB0_1827
.LBB0_804:
	s_cmpk_lt_u32 s11, 0x31d
	s_cbranch_scc0 .LBB0_1828
.LBB0_805:
	s_cmpk_lt_u32 s11, 0x31e
	s_cbranch_scc0 .LBB0_1829
.LBB0_806:
	s_cmpk_lt_u32 s11, 0x31f
	s_cbranch_scc0 .LBB0_1830
.LBB0_807:
	s_cmpk_lt_u32 s11, 0x320
	s_cbranch_scc0 .LBB0_1831
.LBB0_808:
	s_cmpk_lt_u32 s11, 0x321
	s_cbranch_scc0 .LBB0_1832
.LBB0_809:
	s_cmpk_lt_u32 s11, 0x322
	s_cbranch_scc0 .LBB0_1833
.LBB0_810:
	s_cmpk_lt_u32 s11, 0x323
	s_cbranch_scc0 .LBB0_1834
.LBB0_811:
	s_cmpk_lt_u32 s11, 0x324
	s_cbranch_scc0 .LBB0_1835
.LBB0_812:
	s_cmpk_lt_u32 s11, 0x325
	s_cbranch_scc0 .LBB0_1836
.LBB0_813:
	s_cmpk_lt_u32 s11, 0x326
	s_cbranch_scc0 .LBB0_1837
.LBB0_814:
	s_cmpk_lt_u32 s11, 0x327
	s_cbranch_scc0 .LBB0_1838
.LBB0_815:
	s_cmpk_lt_u32 s11, 0x328
	s_cbranch_scc0 .LBB0_1839
.LBB0_816:
	s_cmpk_lt_u32 s11, 0x329
	s_cbranch_scc0 .LBB0_1840
.LBB0_817:
	s_cmpk_lt_u32 s11, 0x32a
	s_cbranch_scc0 .LBB0_1841
.LBB0_818:
	s_cmpk_lt_u32 s11, 0x32b
	s_cbranch_scc0 .LBB0_1842
.LBB0_819:
	s_cmpk_lt_u32 s11, 0x32c
	s_cbranch_scc0 .LBB0_1843
.LBB0_820:
	s_cmpk_lt_u32 s11, 0x32d
	s_cbranch_scc0 .LBB0_1844
.LBB0_821:
	s_cmpk_lt_u32 s11, 0x32e
	s_cbranch_scc0 .LBB0_1845
.LBB0_822:
	s_cmpk_lt_u32 s11, 0x32f
	s_cbranch_scc0 .LBB0_1846
.LBB0_823:
	s_cmpk_lt_u32 s11, 0x330
	s_cbranch_scc0 .LBB0_1847
.LBB0_824:
	s_cmpk_lt_u32 s11, 0x331
	s_cbranch_scc0 .LBB0_1848
.LBB0_825:
	s_cmpk_lt_u32 s11, 0x332
	s_cbranch_scc0 .LBB0_1849
.LBB0_826:
	s_cmpk_lt_u32 s11, 0x333
	s_cbranch_scc0 .LBB0_1850
.LBB0_827:
	s_cmpk_lt_u32 s11, 0x334
	s_cbranch_scc0 .LBB0_1851
.LBB0_828:
	s_cmpk_lt_u32 s11, 0x335
	s_cbranch_scc0 .LBB0_1852
.LBB0_829:
	s_cmpk_lt_u32 s11, 0x336
	s_cbranch_scc0 .LBB0_1853
.LBB0_830:
	s_cmpk_lt_u32 s11, 0x337
	s_cbranch_scc0 .LBB0_1854
.LBB0_831:
	s_cmpk_lt_u32 s11, 0x338
	s_cbranch_scc0 .LBB0_1855
.LBB0_832:
	s_cmpk_lt_u32 s11, 0x339
	s_cbranch_scc0 .LBB0_1856
.LBB0_833:
	s_cmpk_lt_u32 s11, 0x33a
	s_cbranch_scc0 .LBB0_1857
.LBB0_834:
	s_cmpk_lt_u32 s11, 0x33b
	s_cbranch_scc0 .LBB0_1858
.LBB0_835:
	s_cmpk_lt_u32 s11, 0x33c
	s_cbranch_scc0 .LBB0_1859
.LBB0_836:
	s_cmpk_lt_u32 s11, 0x33d
	s_cbranch_scc0 .LBB0_1860
.LBB0_837:
	s_cmpk_lt_u32 s11, 0x33e
	s_cbranch_scc0 .LBB0_1861
.LBB0_838:
	s_cmpk_lt_u32 s11, 0x33f
	s_cbranch_scc0 .LBB0_1862
.LBB0_839:
	s_cmpk_lt_u32 s11, 0x340
	s_cbranch_scc0 .LBB0_1863
.LBB0_840:
	s_cmpk_lt_u32 s11, 0x341
	s_cbranch_scc0 .LBB0_1864
.LBB0_841:
	s_cmpk_lt_u32 s11, 0x342
	s_cbranch_scc0 .LBB0_1865
.LBB0_842:
	s_cmpk_lt_u32 s11, 0x343
	s_cbranch_scc0 .LBB0_1866
.LBB0_843:
	s_cmpk_lt_u32 s11, 0x344
	s_cbranch_scc0 .LBB0_1867
.LBB0_844:
	s_cmpk_lt_u32 s11, 0x345
	s_cbranch_scc0 .LBB0_1868
.LBB0_845:
	s_cmpk_lt_u32 s11, 0x346
	s_cbranch_scc0 .LBB0_1869
.LBB0_846:
	s_cmpk_lt_u32 s11, 0x347
	s_cbranch_scc0 .LBB0_1870
.LBB0_847:
	s_cmpk_lt_u32 s11, 0x348
	s_cbranch_scc0 .LBB0_1871
.LBB0_848:
	s_cmpk_lt_u32 s11, 0x349
	s_cbranch_scc0 .LBB0_1872
.LBB0_849:
	s_cmpk_lt_u32 s11, 0x34a
	s_cbranch_scc0 .LBB0_1873
.LBB0_850:
	s_cmpk_lt_u32 s11, 0x34b
	s_cbranch_scc0 .LBB0_1874
.LBB0_851:
	s_cmpk_lt_u32 s11, 0x34c
	s_cbranch_scc0 .LBB0_1875
.LBB0_852:
	s_cmpk_lt_u32 s11, 0x34d
	s_cbranch_scc0 .LBB0_1876
.LBB0_853:
	s_cmpk_lt_u32 s11, 0x34e
	s_cbranch_scc0 .LBB0_1877
.LBB0_854:
	s_cmpk_lt_u32 s11, 0x34f
	s_cbranch_scc0 .LBB0_1878
.LBB0_855:
	s_cmpk_lt_u32 s11, 0x350
	s_cbranch_scc0 .LBB0_1879
.LBB0_856:
	s_cmpk_lt_u32 s11, 0x351
	s_cbranch_scc0 .LBB0_1880
.LBB0_857:
	s_cmpk_lt_u32 s11, 0x352
	s_cbranch_scc0 .LBB0_1881
.LBB0_858:
	s_cmpk_lt_u32 s11, 0x353
	s_cbranch_scc0 .LBB0_1882
.LBB0_859:
	s_cmpk_lt_u32 s11, 0x354
	s_cbranch_scc0 .LBB0_1883
.LBB0_860:
	s_cmpk_lt_u32 s11, 0x355
	s_cbranch_scc0 .LBB0_1884
.LBB0_861:
	s_cmpk_lt_u32 s11, 0x356
	s_cbranch_scc0 .LBB0_1885
.LBB0_862:
	s_cmpk_lt_u32 s11, 0x357
	s_cbranch_scc0 .LBB0_1886
.LBB0_863:
	s_cmpk_lt_u32 s11, 0x358
	s_cbranch_scc0 .LBB0_1887
.LBB0_864:
	s_cmpk_lt_u32 s11, 0x359
	s_cbranch_scc0 .LBB0_1888
.LBB0_865:
	s_cmpk_lt_u32 s11, 0x35a
	s_cbranch_scc0 .LBB0_1889
.LBB0_866:
	s_cmpk_lt_u32 s11, 0x35b
	s_cbranch_scc0 .LBB0_1890
.LBB0_867:
	s_cmpk_lt_u32 s11, 0x35c
	s_cbranch_scc0 .LBB0_1891
.LBB0_868:
	s_cmpk_lt_u32 s11, 0x35d
	s_cbranch_scc0 .LBB0_1892
.LBB0_869:
	s_cmpk_lt_u32 s11, 0x35e
	s_cbranch_scc0 .LBB0_1893
.LBB0_870:
	s_cmpk_lt_u32 s11, 0x35f
	s_cbranch_scc0 .LBB0_1894
.LBB0_871:
	s_cmpk_lt_u32 s11, 0x360
	s_cbranch_scc0 .LBB0_1895
.LBB0_872:
	s_cmpk_lt_u32 s11, 0x361
	s_cbranch_scc0 .LBB0_1896
.LBB0_873:
	s_cmpk_lt_u32 s11, 0x362
	s_cbranch_scc0 .LBB0_1897
.LBB0_874:
	s_cmpk_lt_u32 s11, 0x363
	s_cbranch_scc0 .LBB0_1898
.LBB0_875:
	s_cmpk_lt_u32 s11, 0x364
	s_cbranch_scc0 .LBB0_1899
.LBB0_876:
	s_cmpk_lt_u32 s11, 0x365
	s_cbranch_scc0 .LBB0_1900
.LBB0_877:
	s_cmpk_lt_u32 s11, 0x366
	s_cbranch_scc0 .LBB0_1901
.LBB0_878:
	s_cmpk_lt_u32 s11, 0x367
	s_cbranch_scc0 .LBB0_1902
.LBB0_879:
	s_cmpk_lt_u32 s11, 0x368
	s_cbranch_scc0 .LBB0_1903
.LBB0_880:
	s_cmpk_lt_u32 s11, 0x369
	s_cbranch_scc0 .LBB0_1904
.LBB0_881:
	s_cmpk_lt_u32 s11, 0x36a
	s_cbranch_scc0 .LBB0_1905
.LBB0_882:
	s_cmpk_lt_u32 s11, 0x36b
	s_cbranch_scc0 .LBB0_1906
.LBB0_883:
	s_cmpk_lt_u32 s11, 0x36c
	s_cbranch_scc0 .LBB0_1907
.LBB0_884:
	s_cmpk_lt_u32 s11, 0x36d
	s_cbranch_scc0 .LBB0_1908
.LBB0_885:
	s_cmpk_lt_u32 s11, 0x36e
	s_cbranch_scc0 .LBB0_1909
.LBB0_886:
	s_cmpk_lt_u32 s11, 0x36f
	s_cbranch_scc0 .LBB0_1910
.LBB0_887:
	s_cmpk_lt_u32 s11, 0x370
	s_cbranch_scc0 .LBB0_1911
.LBB0_888:
	s_cmpk_lt_u32 s11, 0x371
	s_cbranch_scc0 .LBB0_1912
.LBB0_889:
	s_cmpk_lt_u32 s11, 0x372
	s_cbranch_scc0 .LBB0_1913
.LBB0_890:
	s_cmpk_lt_u32 s11, 0x373
	s_cbranch_scc0 .LBB0_1914
.LBB0_891:
	s_cmpk_lt_u32 s11, 0x374
	s_cbranch_scc0 .LBB0_1915
.LBB0_892:
	s_cmpk_lt_u32 s11, 0x375
	s_cbranch_scc0 .LBB0_1916
.LBB0_893:
	s_cmpk_lt_u32 s11, 0x376
	s_cbranch_scc0 .LBB0_1917
.LBB0_894:
	s_cmpk_lt_u32 s11, 0x377
	s_cbranch_scc0 .LBB0_1918
.LBB0_895:
	s_cmpk_lt_u32 s11, 0x378
	s_cbranch_scc0 .LBB0_1919
.LBB0_896:
	s_cmpk_lt_u32 s11, 0x379
	s_cbranch_scc0 .LBB0_1920
.LBB0_897:
	s_cmpk_lt_u32 s11, 0x37a
	s_cbranch_scc0 .LBB0_1921
.LBB0_898:
	s_cmpk_lt_u32 s11, 0x37b
	s_cbranch_scc0 .LBB0_1922
.LBB0_899:
	s_cmpk_lt_u32 s11, 0x37c
	s_cbranch_scc0 .LBB0_1923
.LBB0_900:
	s_cmpk_lt_u32 s11, 0x37d
	s_cbranch_scc0 .LBB0_1924
.LBB0_901:
	s_cmpk_lt_u32 s11, 0x37e
	s_cbranch_scc0 .LBB0_1925
.LBB0_902:
	s_cmpk_lt_u32 s11, 0x37f
	s_cbranch_scc0 .LBB0_1926
.LBB0_903:
	s_cmpk_lt_u32 s11, 0x380
	s_cbranch_scc0 .LBB0_1927
.LBB0_904:
	s_cmpk_lt_u32 s11, 0x381
	s_cbranch_scc0 .LBB0_1928
.LBB0_905:
	s_cmpk_lt_u32 s11, 0x382
	s_cbranch_scc0 .LBB0_1929
.LBB0_906:
	s_cmpk_lt_u32 s11, 0x383
	s_cbranch_scc0 .LBB0_1930
.LBB0_907:
	s_cmpk_lt_u32 s11, 0x384
	s_cbranch_scc0 .LBB0_1931
.LBB0_908:
	s_cmpk_lt_u32 s11, 0x385
	s_cbranch_scc0 .LBB0_1932
.LBB0_909:
	s_cmpk_lt_u32 s11, 0x386
	s_cbranch_scc0 .LBB0_1933
.LBB0_910:
	s_cmpk_lt_u32 s11, 0x387
	s_cbranch_scc0 .LBB0_1934
.LBB0_911:
	s_cmpk_lt_u32 s11, 0x388
	s_cbranch_scc0 .LBB0_1935
.LBB0_912:
	s_cmpk_lt_u32 s11, 0x389
	s_cbranch_scc0 .LBB0_1936
.LBB0_913:
	s_cmpk_lt_u32 s11, 0x38a
	s_cbranch_scc0 .LBB0_1937
.LBB0_914:
	s_cmpk_lt_u32 s11, 0x38b
	s_cbranch_scc0 .LBB0_1938
.LBB0_915:
	s_cmpk_lt_u32 s11, 0x38c
	s_cbranch_scc0 .LBB0_1939
.LBB0_916:
	s_cmpk_lt_u32 s11, 0x38d
	s_cbranch_scc0 .LBB0_1940
.LBB0_917:
	s_cmpk_lt_u32 s11, 0x38e
	s_cbranch_scc0 .LBB0_1941
.LBB0_918:
	s_cmpk_lt_u32 s11, 0x38f
	s_cbranch_scc0 .LBB0_1942
.LBB0_919:
	s_cmpk_lt_u32 s11, 0x390
	s_cbranch_scc0 .LBB0_1943
.LBB0_920:
	s_cmpk_lt_u32 s11, 0x391
	s_cbranch_scc0 .LBB0_1944
.LBB0_921:
	s_cmpk_lt_u32 s11, 0x392
	s_cbranch_scc0 .LBB0_1945
.LBB0_922:
	s_cmpk_lt_u32 s11, 0x393
	s_cbranch_scc0 .LBB0_1946
.LBB0_923:
	s_cmpk_lt_u32 s11, 0x394
	s_cbranch_scc0 .LBB0_1947
.LBB0_924:
	s_cmpk_lt_u32 s11, 0x395
	s_cbranch_scc0 .LBB0_1948
.LBB0_925:
	s_cmpk_lt_u32 s11, 0x396
	s_cbranch_scc0 .LBB0_1949
.LBB0_926:
	s_cmpk_lt_u32 s11, 0x397
	s_cbranch_scc0 .LBB0_1950
.LBB0_927:
	s_cmpk_lt_u32 s11, 0x398
	s_cbranch_scc0 .LBB0_1951
.LBB0_928:
	s_cmpk_lt_u32 s11, 0x399
	s_cbranch_scc0 .LBB0_1952
.LBB0_929:
	s_cmpk_lt_u32 s11, 0x39a
	s_cbranch_scc0 .LBB0_1953
.LBB0_930:
	s_cmpk_lt_u32 s11, 0x39b
	s_cbranch_scc0 .LBB0_1954
.LBB0_931:
	s_cmpk_lt_u32 s11, 0x39c
	s_cbranch_scc0 .LBB0_1955
.LBB0_932:
	s_cmpk_lt_u32 s11, 0x39d
	s_cbranch_scc0 .LBB0_1956
.LBB0_933:
	s_cmpk_lt_u32 s11, 0x39e
	s_cbranch_scc0 .LBB0_1957
.LBB0_934:
	s_cmpk_lt_u32 s11, 0x39f
	s_cbranch_scc0 .LBB0_1958
.LBB0_935:
	s_cmpk_lt_u32 s11, 0x3a0
	s_cbranch_scc0 .LBB0_1959
.LBB0_936:
	s_cmpk_lt_u32 s11, 0x3a1
	s_cbranch_scc0 .LBB0_1960
.LBB0_937:
	s_cmpk_lt_u32 s11, 0x3a2
	s_cbranch_scc0 .LBB0_1961
.LBB0_938:
	s_cmpk_lt_u32 s11, 0x3a3
	s_cbranch_scc0 .LBB0_1962
.LBB0_939:
	s_cmpk_lt_u32 s11, 0x3a4
	s_cbranch_scc0 .LBB0_1963
.LBB0_940:
	s_cmpk_lt_u32 s11, 0x3a5
	s_cbranch_scc0 .LBB0_1964
.LBB0_941:
	s_cmpk_lt_u32 s11, 0x3a6
	s_cbranch_scc0 .LBB0_1965
.LBB0_942:
	s_cmpk_lt_u32 s11, 0x3a7
	s_cbranch_scc0 .LBB0_1966
.LBB0_943:
	s_cmpk_lt_u32 s11, 0x3a8
	s_cbranch_scc0 .LBB0_1967
.LBB0_944:
	s_cmpk_lt_u32 s11, 0x3a9
	s_cbranch_scc0 .LBB0_1968
.LBB0_945:
	s_cmpk_lt_u32 s11, 0x3aa
	s_cbranch_scc0 .LBB0_1969
.LBB0_946:
	s_cmpk_lt_u32 s11, 0x3ab
	s_cbranch_scc0 .LBB0_1970
.LBB0_947:
	s_cmpk_lt_u32 s11, 0x3ac
	s_cbranch_scc0 .LBB0_1971
.LBB0_948:
	s_cmpk_lt_u32 s11, 0x3ad
	s_cbranch_scc0 .LBB0_1972
.LBB0_949:
	s_cmpk_lt_u32 s11, 0x3ae
	s_cbranch_scc0 .LBB0_1973
.LBB0_950:
	s_cmpk_lt_u32 s11, 0x3af
	s_cbranch_scc0 .LBB0_1974
.LBB0_951:
	s_cmpk_lt_u32 s11, 0x3b0
	s_cbranch_scc0 .LBB0_1975
.LBB0_952:
	s_cmpk_lt_u32 s11, 0x3b1
	s_cbranch_scc0 .LBB0_1976
.LBB0_953:
	s_cmpk_lt_u32 s11, 0x3b2
	s_cbranch_scc0 .LBB0_1977
.LBB0_954:
	s_cmpk_lt_u32 s11, 0x3b3
	s_cbranch_scc0 .LBB0_1978
.LBB0_955:
	s_cmpk_lt_u32 s11, 0x3b4
	s_cbranch_scc0 .LBB0_1979
.LBB0_956:
	s_cmpk_lt_u32 s11, 0x3b5
	s_cbranch_scc0 .LBB0_1980
.LBB0_957:
	s_cmpk_lt_u32 s11, 0x3b6
	s_cbranch_scc0 .LBB0_1981
.LBB0_958:
	s_cmpk_lt_u32 s11, 0x3b7
	s_cbranch_scc0 .LBB0_1982
.LBB0_959:
	s_cmpk_lt_u32 s11, 0x3b8
	s_cbranch_scc0 .LBB0_1983
.LBB0_960:
	s_cmpk_lt_u32 s11, 0x3b9
	s_cbranch_scc0 .LBB0_1984
.LBB0_961:
	s_cmpk_lt_u32 s11, 0x3ba
	s_cbranch_scc0 .LBB0_1985
.LBB0_962:
	s_cmpk_lt_u32 s11, 0x3bb
	s_cbranch_scc0 .LBB0_1986
.LBB0_963:
	s_cmpk_lt_u32 s11, 0x3bc
	s_cbranch_scc0 .LBB0_1987
.LBB0_964:
	s_cmpk_lt_u32 s11, 0x3bd
	s_cbranch_scc0 .LBB0_1988
.LBB0_965:
	s_cmpk_lt_u32 s11, 0x3be
	s_cbranch_scc0 .LBB0_1989
.LBB0_966:
	s_cmpk_lt_u32 s11, 0x3bf
	s_cbranch_scc0 .LBB0_1990
.LBB0_967:
	s_cmpk_lt_u32 s11, 0x3c0
	s_cbranch_scc0 .LBB0_1991
.LBB0_968:
	s_cmpk_lt_u32 s11, 0x3c1
	s_cbranch_scc0 .LBB0_1992
.LBB0_969:
	s_cmpk_lt_u32 s11, 0x3c2
	s_cbranch_scc0 .LBB0_1993
.LBB0_970:
	s_cmpk_lt_u32 s11, 0x3c3
	s_cbranch_scc0 .LBB0_1994
.LBB0_971:
	s_cmpk_lt_u32 s11, 0x3c4
	s_cbranch_scc0 .LBB0_1995
.LBB0_972:
	s_cmpk_lt_u32 s11, 0x3c5
	s_cbranch_scc0 .LBB0_1996
.LBB0_973:
	s_cmpk_lt_u32 s11, 0x3c6
	s_cbranch_scc0 .LBB0_1997
.LBB0_974:
	s_cmpk_lt_u32 s11, 0x3c7
	s_cbranch_scc0 .LBB0_1998
.LBB0_975:
	s_cmpk_lt_u32 s11, 0x3c8
	s_cbranch_scc0 .LBB0_1999
.LBB0_976:
	s_cmpk_lt_u32 s11, 0x3c9
	s_cbranch_scc0 .LBB0_2000
.LBB0_977:
	s_cmpk_lt_u32 s11, 0x3ca
	s_cbranch_scc0 .LBB0_2001
.LBB0_978:
	s_cmpk_lt_u32 s11, 0x3cb
	s_cbranch_scc0 .LBB0_2002
.LBB0_979:
	s_cmpk_lt_u32 s11, 0x3cc
	s_cbranch_scc0 .LBB0_2003
.LBB0_980:
	s_cmpk_lt_u32 s11, 0x3cd
	s_cbranch_scc0 .LBB0_2004
.LBB0_981:
	s_cmpk_lt_u32 s11, 0x3ce
	s_cbranch_scc0 .LBB0_2005
.LBB0_982:
	s_cmpk_lt_u32 s11, 0x3cf
	s_cbranch_scc0 .LBB0_2006
.LBB0_983:
	s_cmpk_lt_u32 s11, 0x3d0
	s_cbranch_scc0 .LBB0_2007
.LBB0_984:
	s_cmpk_lt_u32 s11, 0x3d1
	s_cbranch_scc0 .LBB0_2008
.LBB0_985:
	s_cmpk_lt_u32 s11, 0x3d2
	s_cbranch_scc0 .LBB0_2009
.LBB0_986:
	s_cmpk_lt_u32 s11, 0x3d3
	s_cbranch_scc0 .LBB0_2010
.LBB0_987:
	s_cmpk_lt_u32 s11, 0x3d4
	s_cbranch_scc0 .LBB0_2011
.LBB0_988:
	s_cmpk_lt_u32 s11, 0x3d5
	s_cbranch_scc0 .LBB0_2012
.LBB0_989:
	s_cmpk_lt_u32 s11, 0x3d6
	s_cbranch_scc0 .LBB0_2013
.LBB0_990:
	s_cmpk_lt_u32 s11, 0x3d7
	s_cbranch_scc0 .LBB0_2014
.LBB0_991:
	s_cmpk_lt_u32 s11, 0x3d8
	s_cbranch_scc0 .LBB0_2015
.LBB0_992:
	s_cmpk_lt_u32 s11, 0x3d9
	s_cbranch_scc0 .LBB0_2016
.LBB0_993:
	s_cmpk_lt_u32 s11, 0x3da
	s_cbranch_scc0 .LBB0_2017
.LBB0_994:
	s_cmpk_lt_u32 s11, 0x3db
	s_cbranch_scc0 .LBB0_2018
.LBB0_995:
	s_cmpk_lt_u32 s11, 0x3dc
	s_cbranch_scc0 .LBB0_2019
.LBB0_996:
	s_cmpk_lt_u32 s11, 0x3dd
	s_cbranch_scc0 .LBB0_2020
.LBB0_997:
	s_cmpk_lt_u32 s11, 0x3de
	s_cbranch_scc0 .LBB0_2021
.LBB0_998:
	s_cmpk_lt_u32 s11, 0x3df
	s_cbranch_scc0 .LBB0_2022
.LBB0_999:
	s_cmpk_lt_u32 s11, 0x3e0
	s_cbranch_scc0 .LBB0_2023
.LBB0_1000:
	s_cmpk_lt_u32 s11, 0x3e1
	s_cbranch_scc0 .LBB0_2024
.LBB0_1001:
	s_cmpk_lt_u32 s11, 0x3e2
	s_cbranch_scc0 .LBB0_2025
.LBB0_1002:
	s_cmpk_lt_u32 s11, 0x3e3
	s_cbranch_scc0 .LBB0_2026
.LBB0_1003:
	s_cmpk_lt_u32 s11, 0x3e4
	s_cbranch_scc0 .LBB0_2027
.LBB0_1004:
	s_cmpk_lt_u32 s11, 0x3e5
	s_cbranch_scc0 .LBB0_2028
.LBB0_1005:
	s_cmpk_lt_u32 s11, 0x3e6
	s_cbranch_scc0 .LBB0_2029
.LBB0_1006:
	s_cmpk_lt_u32 s11, 0x3e7
	s_cbranch_scc0 .LBB0_2030
.LBB0_1007:
	s_cmpk_lt_u32 s11, 0x3e8
	s_cbranch_scc0 .LBB0_2031
.LBB0_1008:
	s_cmpk_lt_u32 s11, 0x3e9
	s_cbranch_scc0 .LBB0_2032
.LBB0_1009:
	s_cmpk_lt_u32 s11, 0x3ea
	s_cbranch_scc0 .LBB0_2033
.LBB0_1010:
	s_cmpk_lt_u32 s11, 0x3eb
	s_cbranch_scc0 .LBB0_2034
.LBB0_1011:
	s_cmpk_lt_u32 s11, 0x3ec
	s_cbranch_scc0 .LBB0_2035
.LBB0_1012:
	s_cmpk_lt_u32 s11, 0x3ed
	s_cbranch_scc0 .LBB0_2036
.LBB0_1013:
	s_cmpk_lt_u32 s11, 0x3ee
	s_cbranch_scc0 .LBB0_2037
.LBB0_1014:
	s_cmpk_lt_u32 s11, 0x3ef
	s_cbranch_scc0 .LBB0_2038
.LBB0_1015:
	s_cmpk_lt_u32 s11, 0x3f0
	s_cbranch_scc0 .LBB0_2039
.LBB0_1016:
	s_cmpk_lt_u32 s11, 0x3f1
	s_cbranch_scc0 .LBB0_2040
.LBB0_1017:
	s_cmpk_lt_u32 s11, 0x3f2
	s_cbranch_scc0 .LBB0_2041
.LBB0_1018:
	s_cmpk_lt_u32 s11, 0x3f3
	s_cbranch_scc0 .LBB0_2042
.LBB0_1019:
	s_cmpk_lt_u32 s11, 0x3f4
	s_cbranch_scc0 .LBB0_2043
.LBB0_1020:
	s_cmpk_lt_u32 s11, 0x3f5
	s_cbranch_scc0 .LBB0_2044
.LBB0_1021:
	s_cmpk_lt_u32 s11, 0x3f6
	s_cbranch_scc0 .LBB0_2045
.LBB0_1022:
	s_cmpk_lt_u32 s11, 0x3f7
	s_cbranch_scc0 .LBB0_2046
.LBB0_1023:
	s_cmpk_lt_u32 s11, 0x3f8
	s_cbranch_scc0 .LBB0_2047
.LBB0_1024:
	s_cmpk_lt_u32 s11, 0x3f9
	s_cbranch_scc0 .LBB0_2048
.LBB0_1025:
	s_cmpk_lt_u32 s11, 0x3fa
	s_cbranch_scc0 .LBB0_2049
.LBB0_1026:
	s_cmpk_lt_u32 s11, 0x3fb
	s_cbranch_scc0 .LBB0_2050
.LBB0_1027:
	s_cmpk_lt_u32 s11, 0x3fc
	s_cbranch_scc0 .LBB0_2051
.LBB0_1028:
	s_cmpk_lt_u32 s11, 0x3fd
	s_cbranch_scc0 .LBB0_2052
.LBB0_1029:
	s_cmpk_lt_u32 s11, 0x3fe
	s_cbranch_scc0 .LBB0_2053
.LBB0_1030:
	s_cmpk_lt_u32 s11, 0x3ff
	s_cbranch_scc0 .LBB0_2054
.LBB0_1031:
	s_cmpk_lt_u32 s11, 0x400
	s_cbranch_scc0 .LBB0_2055
.LBB0_1032:
	s_endpgm
.LBB0_1033:
	buffer_load_dword v0, off, s[0:3], 0 offset:20
	v_mov_b32_e32 v1, 0
	s_waitcnt vmcnt(0)
	global_store_dword v1, v0, s[6:7] offset:4
	s_cmp_lt_u32 s11, 3
	s_cbranch_scc1 .LBB0_11
.LBB0_1034:
	buffer_load_dword v0, off, s[0:3], 0 offset:24
	v_mov_b32_e32 v1, 0
	s_waitcnt vmcnt(0)
	global_store_dword v1, v0, s[6:7] offset:8
	s_cmp_lt_u32 s11, 4
	s_cbranch_scc1 .LBB0_12
.LBB0_1035:
	buffer_load_dword v0, off, s[0:3], 0 offset:28
	v_mov_b32_e32 v1, 0
	s_waitcnt vmcnt(0)
	global_store_dword v1, v0, s[6:7] offset:12
	s_cmp_lt_u32 s11, 5
	s_cbranch_scc1 .LBB0_13
.LBB0_1036:
	buffer_load_dword v0, off, s[0:3], 0 offset:32
	v_mov_b32_e32 v1, 0
	s_waitcnt vmcnt(0)
	global_store_dword v1, v0, s[6:7] offset:16
	s_cmp_lt_u32 s11, 6
	s_cbranch_scc1 .LBB0_14
.LBB0_1037:
	buffer_load_dword v0, off, s[0:3], 0 offset:36
	v_mov_b32_e32 v1, 0
	s_waitcnt vmcnt(0)
	global_store_dword v1, v0, s[6:7] offset:20
	s_cmp_lt_u32 s11, 7
	s_cbranch_scc1 .LBB0_15
.LBB0_1038:
	buffer_load_dword v0, off, s[0:3], 0 offset:40
	v_mov_b32_e32 v1, 0
	s_waitcnt vmcnt(0)
	global_store_dword v1, v0, s[6:7] offset:24
	s_cmp_lt_u32 s11, 8
	s_cbranch_scc1 .LBB0_16
.LBB0_1039:
	buffer_load_dword v0, off, s[0:3], 0 offset:44
	v_mov_b32_e32 v1, 0
	s_waitcnt vmcnt(0)
	global_store_dword v1, v0, s[6:7] offset:28
	s_cmp_lt_u32 s11, 9
	s_cbranch_scc1 .LBB0_17
.LBB0_1040:
	buffer_load_dword v0, off, s[0:3], 0 offset:48
	v_mov_b32_e32 v1, 0
	s_waitcnt vmcnt(0)
	global_store_dword v1, v0, s[6:7] offset:32
	s_cmp_lt_u32 s11, 10
	s_cbranch_scc1 .LBB0_18
.LBB0_1041:
	buffer_load_dword v0, off, s[0:3], 0 offset:52
	v_mov_b32_e32 v1, 0
	s_waitcnt vmcnt(0)
	global_store_dword v1, v0, s[6:7] offset:36
	s_cmp_lt_u32 s11, 11
	s_cbranch_scc1 .LBB0_19
.LBB0_1042:
	buffer_load_dword v0, off, s[0:3], 0 offset:56
	v_mov_b32_e32 v1, 0
	s_waitcnt vmcnt(0)
	global_store_dword v1, v0, s[6:7] offset:40
	s_cmp_lt_u32 s11, 12
	s_cbranch_scc1 .LBB0_20
.LBB0_1043:
	buffer_load_dword v0, off, s[0:3], 0 offset:60
	v_mov_b32_e32 v1, 0
	s_waitcnt vmcnt(0)
	global_store_dword v1, v0, s[6:7] offset:44
	s_cmp_lt_u32 s11, 13
	s_cbranch_scc1 .LBB0_21
.LBB0_1044:
	buffer_load_dword v0, off, s[0:3], 0 offset:64
	v_mov_b32_e32 v1, 0
	s_waitcnt vmcnt(0)
	global_store_dword v1, v0, s[6:7] offset:48
	s_cmp_lt_u32 s11, 14
	s_cbranch_scc1 .LBB0_22
.LBB0_1045:
	buffer_load_dword v0, off, s[0:3], 0 offset:68
	v_mov_b32_e32 v1, 0
	s_waitcnt vmcnt(0)
	global_store_dword v1, v0, s[6:7] offset:52
	s_cmp_lt_u32 s11, 15
	s_cbranch_scc1 .LBB0_23
.LBB0_1046:
	buffer_load_dword v0, off, s[0:3], 0 offset:72
	v_mov_b32_e32 v1, 0
	s_waitcnt vmcnt(0)
	global_store_dword v1, v0, s[6:7] offset:56
	s_cmp_lt_u32 s11, 16
	s_cbranch_scc1 .LBB0_24
.LBB0_1047:
	buffer_load_dword v0, off, s[0:3], 0 offset:76
	v_mov_b32_e32 v1, 0
	s_waitcnt vmcnt(0)
	global_store_dword v1, v0, s[6:7] offset:60
	s_cmp_lt_u32 s11, 17
	s_cbranch_scc1 .LBB0_25
.LBB0_1048:
	buffer_load_dword v0, off, s[0:3], 0 offset:80
	v_mov_b32_e32 v1, 0
	s_waitcnt vmcnt(0)
	global_store_dword v1, v0, s[6:7] offset:64
	s_cmp_lt_u32 s11, 18
	s_cbranch_scc1 .LBB0_26
.LBB0_1049:
	buffer_load_dword v0, off, s[0:3], 0 offset:84
	v_mov_b32_e32 v1, 0
	s_waitcnt vmcnt(0)
	global_store_dword v1, v0, s[6:7] offset:68
	s_cmp_lt_u32 s11, 19
	s_cbranch_scc1 .LBB0_27
.LBB0_1050:
	buffer_load_dword v0, off, s[0:3], 0 offset:88
	v_mov_b32_e32 v1, 0
	s_waitcnt vmcnt(0)
	global_store_dword v1, v0, s[6:7] offset:72
	s_cmp_lt_u32 s11, 20
	s_cbranch_scc1 .LBB0_28
.LBB0_1051:
	buffer_load_dword v0, off, s[0:3], 0 offset:92
	v_mov_b32_e32 v1, 0
	s_waitcnt vmcnt(0)
	global_store_dword v1, v0, s[6:7] offset:76
	s_cmp_lt_u32 s11, 21
	s_cbranch_scc1 .LBB0_29
.LBB0_1052:
	buffer_load_dword v0, off, s[0:3], 0 offset:96
	v_mov_b32_e32 v1, 0
	s_waitcnt vmcnt(0)
	global_store_dword v1, v0, s[6:7] offset:80
	s_cmp_lt_u32 s11, 22
	s_cbranch_scc1 .LBB0_30
.LBB0_1053:
	buffer_load_dword v0, off, s[0:3], 0 offset:100
	v_mov_b32_e32 v1, 0
	s_waitcnt vmcnt(0)
	global_store_dword v1, v0, s[6:7] offset:84
	s_cmp_lt_u32 s11, 23
	s_cbranch_scc1 .LBB0_31
.LBB0_1054:
	buffer_load_dword v0, off, s[0:3], 0 offset:104
	v_mov_b32_e32 v1, 0
	s_waitcnt vmcnt(0)
	global_store_dword v1, v0, s[6:7] offset:88
	s_cmp_lt_u32 s11, 24
	s_cbranch_scc1 .LBB0_32
.LBB0_1055:
	buffer_load_dword v0, off, s[0:3], 0 offset:108
	v_mov_b32_e32 v1, 0
	s_waitcnt vmcnt(0)
	global_store_dword v1, v0, s[6:7] offset:92
	s_cmp_lt_u32 s11, 25
	s_cbranch_scc1 .LBB0_33
.LBB0_1056:
	buffer_load_dword v0, off, s[0:3], 0 offset:112
	v_mov_b32_e32 v1, 0
	s_waitcnt vmcnt(0)
	global_store_dword v1, v0, s[6:7] offset:96
	s_cmp_lt_u32 s11, 26
	s_cbranch_scc1 .LBB0_34
.LBB0_1057:
	buffer_load_dword v0, off, s[0:3], 0 offset:116
	v_mov_b32_e32 v1, 0
	s_waitcnt vmcnt(0)
	global_store_dword v1, v0, s[6:7] offset:100
	s_cmp_lt_u32 s11, 27
	s_cbranch_scc1 .LBB0_35
.LBB0_1058:
	buffer_load_dword v0, off, s[0:3], 0 offset:120
	v_mov_b32_e32 v1, 0
	s_waitcnt vmcnt(0)
	global_store_dword v1, v0, s[6:7] offset:104
	s_cmp_lt_u32 s11, 28
	s_cbranch_scc1 .LBB0_36
.LBB0_1059:
	buffer_load_dword v0, off, s[0:3], 0 offset:124
	v_mov_b32_e32 v1, 0
	s_waitcnt vmcnt(0)
	global_store_dword v1, v0, s[6:7] offset:108
	s_cmp_lt_u32 s11, 29
	s_cbranch_scc1 .LBB0_37
.LBB0_1060:
	buffer_load_dword v0, off, s[0:3], 0 offset:128
	v_mov_b32_e32 v1, 0
	s_waitcnt vmcnt(0)
	global_store_dword v1, v0, s[6:7] offset:112
	s_cmp_lt_u32 s11, 30
	s_cbranch_scc1 .LBB0_38
.LBB0_1061:
	buffer_load_dword v0, off, s[0:3], 0 offset:132
	v_mov_b32_e32 v1, 0
	s_waitcnt vmcnt(0)
	global_store_dword v1, v0, s[6:7] offset:116
	s_cmp_lt_u32 s11, 31
	s_cbranch_scc1 .LBB0_39
.LBB0_1062:
	buffer_load_dword v0, off, s[0:3], 0 offset:136
	v_mov_b32_e32 v1, 0
	s_waitcnt vmcnt(0)
	global_store_dword v1, v0, s[6:7] offset:120
	s_cmp_lt_u32 s11, 32
	s_cbranch_scc1 .LBB0_40
.LBB0_1063:
	buffer_load_dword v0, off, s[0:3], 0 offset:140
	v_mov_b32_e32 v1, 0
	s_waitcnt vmcnt(0)
	global_store_dword v1, v0, s[6:7] offset:124
	s_cmp_lt_u32 s11, 33
	s_cbranch_scc1 .LBB0_41
.LBB0_1064:
	buffer_load_dword v0, off, s[0:3], 0 offset:144
	v_mov_b32_e32 v1, 0
	s_waitcnt vmcnt(0)
	global_store_dword v1, v0, s[6:7] offset:128
	s_cmp_lt_u32 s11, 34
	s_cbranch_scc1 .LBB0_42
.LBB0_1065:
	buffer_load_dword v0, off, s[0:3], 0 offset:148
	v_mov_b32_e32 v1, 0
	s_waitcnt vmcnt(0)
	global_store_dword v1, v0, s[6:7] offset:132
	s_cmp_lt_u32 s11, 35
	s_cbranch_scc1 .LBB0_43
.LBB0_1066:
	buffer_load_dword v0, off, s[0:3], 0 offset:152
	v_mov_b32_e32 v1, 0
	s_waitcnt vmcnt(0)
	global_store_dword v1, v0, s[6:7] offset:136
	s_cmp_lt_u32 s11, 36
	s_cbranch_scc1 .LBB0_44
.LBB0_1067:
	buffer_load_dword v0, off, s[0:3], 0 offset:156
	v_mov_b32_e32 v1, 0
	s_waitcnt vmcnt(0)
	global_store_dword v1, v0, s[6:7] offset:140
	s_cmp_lt_u32 s11, 37
	s_cbranch_scc1 .LBB0_45
.LBB0_1068:
	buffer_load_dword v0, off, s[0:3], 0 offset:160
	v_mov_b32_e32 v1, 0
	s_waitcnt vmcnt(0)
	global_store_dword v1, v0, s[6:7] offset:144
	s_cmp_lt_u32 s11, 38
	s_cbranch_scc1 .LBB0_46
.LBB0_1069:
	buffer_load_dword v0, off, s[0:3], 0 offset:164
	v_mov_b32_e32 v1, 0
	s_waitcnt vmcnt(0)
	global_store_dword v1, v0, s[6:7] offset:148
	s_cmp_lt_u32 s11, 39
	s_cbranch_scc1 .LBB0_47
.LBB0_1070:
	buffer_load_dword v0, off, s[0:3], 0 offset:168
	v_mov_b32_e32 v1, 0
	s_waitcnt vmcnt(0)
	global_store_dword v1, v0, s[6:7] offset:152
	s_cmp_lt_u32 s11, 40
	s_cbranch_scc1 .LBB0_48
.LBB0_1071:
	buffer_load_dword v0, off, s[0:3], 0 offset:172
	v_mov_b32_e32 v1, 0
	s_waitcnt vmcnt(0)
	global_store_dword v1, v0, s[6:7] offset:156
	s_cmp_lt_u32 s11, 41
	s_cbranch_scc1 .LBB0_49
.LBB0_1072:
	buffer_load_dword v0, off, s[0:3], 0 offset:176
	v_mov_b32_e32 v1, 0
	s_waitcnt vmcnt(0)
	global_store_dword v1, v0, s[6:7] offset:160
	s_cmp_lt_u32 s11, 42
	s_cbranch_scc1 .LBB0_50
.LBB0_1073:
	buffer_load_dword v0, off, s[0:3], 0 offset:180
	v_mov_b32_e32 v1, 0
	s_waitcnt vmcnt(0)
	global_store_dword v1, v0, s[6:7] offset:164
	s_cmp_lt_u32 s11, 43
	s_cbranch_scc1 .LBB0_51
.LBB0_1074:
	buffer_load_dword v0, off, s[0:3], 0 offset:184
	v_mov_b32_e32 v1, 0
	s_waitcnt vmcnt(0)
	global_store_dword v1, v0, s[6:7] offset:168
	s_cmp_lt_u32 s11, 44
	s_cbranch_scc1 .LBB0_52
.LBB0_1075:
	buffer_load_dword v0, off, s[0:3], 0 offset:188
	v_mov_b32_e32 v1, 0
	s_waitcnt vmcnt(0)
	global_store_dword v1, v0, s[6:7] offset:172
	s_cmp_lt_u32 s11, 45
	s_cbranch_scc1 .LBB0_53
.LBB0_1076:
	buffer_load_dword v0, off, s[0:3], 0 offset:192
	v_mov_b32_e32 v1, 0
	s_waitcnt vmcnt(0)
	global_store_dword v1, v0, s[6:7] offset:176
	s_cmp_lt_u32 s11, 46
	s_cbranch_scc1 .LBB0_54
.LBB0_1077:
	buffer_load_dword v0, off, s[0:3], 0 offset:196
	v_mov_b32_e32 v1, 0
	s_waitcnt vmcnt(0)
	global_store_dword v1, v0, s[6:7] offset:180
	s_cmp_lt_u32 s11, 47
	s_cbranch_scc1 .LBB0_55
.LBB0_1078:
	buffer_load_dword v0, off, s[0:3], 0 offset:200
	v_mov_b32_e32 v1, 0
	s_waitcnt vmcnt(0)
	global_store_dword v1, v0, s[6:7] offset:184
	s_cmp_lt_u32 s11, 48
	s_cbranch_scc1 .LBB0_56
.LBB0_1079:
	buffer_load_dword v0, off, s[0:3], 0 offset:204
	v_mov_b32_e32 v1, 0
	s_waitcnt vmcnt(0)
	global_store_dword v1, v0, s[6:7] offset:188
	s_cmp_lt_u32 s11, 49
	s_cbranch_scc1 .LBB0_57
.LBB0_1080:
	buffer_load_dword v0, off, s[0:3], 0 offset:208
	v_mov_b32_e32 v1, 0
	s_waitcnt vmcnt(0)
	global_store_dword v1, v0, s[6:7] offset:192
	s_cmp_lt_u32 s11, 50
	s_cbranch_scc1 .LBB0_58
.LBB0_1081:
	buffer_load_dword v0, off, s[0:3], 0 offset:212
	v_mov_b32_e32 v1, 0
	s_waitcnt vmcnt(0)
	global_store_dword v1, v0, s[6:7] offset:196
	s_cmp_lt_u32 s11, 51
	s_cbranch_scc1 .LBB0_59
.LBB0_1082:
	buffer_load_dword v0, off, s[0:3], 0 offset:216
	v_mov_b32_e32 v1, 0
	s_waitcnt vmcnt(0)
	global_store_dword v1, v0, s[6:7] offset:200
	s_cmp_lt_u32 s11, 52
	s_cbranch_scc1 .LBB0_60
.LBB0_1083:
	buffer_load_dword v0, off, s[0:3], 0 offset:220
	v_mov_b32_e32 v1, 0
	s_waitcnt vmcnt(0)
	global_store_dword v1, v0, s[6:7] offset:204
	s_cmp_lt_u32 s11, 53
	s_cbranch_scc1 .LBB0_61
.LBB0_1084:
	buffer_load_dword v0, off, s[0:3], 0 offset:224
	v_mov_b32_e32 v1, 0
	s_waitcnt vmcnt(0)
	global_store_dword v1, v0, s[6:7] offset:208
	s_cmp_lt_u32 s11, 54
	s_cbranch_scc1 .LBB0_62
.LBB0_1085:
	buffer_load_dword v0, off, s[0:3], 0 offset:228
	v_mov_b32_e32 v1, 0
	s_waitcnt vmcnt(0)
	global_store_dword v1, v0, s[6:7] offset:212
	s_cmp_lt_u32 s11, 55
	s_cbranch_scc1 .LBB0_63
.LBB0_1086:
	buffer_load_dword v0, off, s[0:3], 0 offset:232
	v_mov_b32_e32 v1, 0
	s_waitcnt vmcnt(0)
	global_store_dword v1, v0, s[6:7] offset:216
	s_cmp_lt_u32 s11, 56
	s_cbranch_scc1 .LBB0_64
.LBB0_1087:
	buffer_load_dword v0, off, s[0:3], 0 offset:236
	v_mov_b32_e32 v1, 0
	s_waitcnt vmcnt(0)
	global_store_dword v1, v0, s[6:7] offset:220
	s_cmp_lt_u32 s11, 57
	s_cbranch_scc1 .LBB0_65
.LBB0_1088:
	buffer_load_dword v0, off, s[0:3], 0 offset:240
	v_mov_b32_e32 v1, 0
	s_waitcnt vmcnt(0)
	global_store_dword v1, v0, s[6:7] offset:224
	s_cmp_lt_u32 s11, 58
	s_cbranch_scc1 .LBB0_66
.LBB0_1089:
	buffer_load_dword v0, off, s[0:3], 0 offset:244
	v_mov_b32_e32 v1, 0
	s_waitcnt vmcnt(0)
	global_store_dword v1, v0, s[6:7] offset:228
	s_cmp_lt_u32 s11, 59
	s_cbranch_scc1 .LBB0_67
.LBB0_1090:
	buffer_load_dword v0, off, s[0:3], 0 offset:248
	v_mov_b32_e32 v1, 0
	s_waitcnt vmcnt(0)
	global_store_dword v1, v0, s[6:7] offset:232
	s_cmp_lt_u32 s11, 60
	s_cbranch_scc1 .LBB0_68
.LBB0_1091:
	buffer_load_dword v0, off, s[0:3], 0 offset:252
	v_mov_b32_e32 v1, 0
	s_waitcnt vmcnt(0)
	global_store_dword v1, v0, s[6:7] offset:236
	s_cmp_lt_u32 s11, 61
	s_cbranch_scc1 .LBB0_69
.LBB0_1092:
	buffer_load_dword v0, off, s[0:3], 0 offset:256
	v_mov_b32_e32 v1, 0
	s_waitcnt vmcnt(0)
	global_store_dword v1, v0, s[6:7] offset:240
	s_cmp_lt_u32 s11, 62
	s_cbranch_scc1 .LBB0_70
.LBB0_1093:
	buffer_load_dword v0, off, s[0:3], 0 offset:260
	v_mov_b32_e32 v1, 0
	s_waitcnt vmcnt(0)
	global_store_dword v1, v0, s[6:7] offset:244
	s_cmp_lt_u32 s11, 63
	s_cbranch_scc1 .LBB0_71
.LBB0_1094:
	buffer_load_dword v0, off, s[0:3], 0 offset:264
	v_mov_b32_e32 v1, 0
	s_waitcnt vmcnt(0)
	global_store_dword v1, v0, s[6:7] offset:248
	s_cmp_lt_u32 s11, 64
	s_cbranch_scc1 .LBB0_72
.LBB0_1095:
	buffer_load_dword v0, off, s[0:3], 0 offset:268
	v_mov_b32_e32 v1, 0
	s_waitcnt vmcnt(0)
	global_store_dword v1, v0, s[6:7] offset:252
	s_cmpk_lt_u32 s11, 0x41
	s_cbranch_scc1 .LBB0_73
.LBB0_1096:
	buffer_load_dword v0, off, s[0:3], 0 offset:272
	v_mov_b32_e32 v1, 0
	s_waitcnt vmcnt(0)
	global_store_dword v1, v0, s[6:7] offset:256
	s_cmpk_lt_u32 s11, 0x42
	s_cbranch_scc1 .LBB0_74
.LBB0_1097:
	buffer_load_dword v0, off, s[0:3], 0 offset:276
	v_mov_b32_e32 v1, 0
	s_waitcnt vmcnt(0)
	global_store_dword v1, v0, s[6:7] offset:260
	s_cmpk_lt_u32 s11, 0x43
	s_cbranch_scc1 .LBB0_75
.LBB0_1098:
	buffer_load_dword v0, off, s[0:3], 0 offset:280
	v_mov_b32_e32 v1, 0
	s_waitcnt vmcnt(0)
	global_store_dword v1, v0, s[6:7] offset:264
	s_cmpk_lt_u32 s11, 0x44
	s_cbranch_scc1 .LBB0_76
.LBB0_1099:
	buffer_load_dword v0, off, s[0:3], 0 offset:284
	v_mov_b32_e32 v1, 0
	s_waitcnt vmcnt(0)
	global_store_dword v1, v0, s[6:7] offset:268
	s_cmpk_lt_u32 s11, 0x45
	s_cbranch_scc1 .LBB0_77
.LBB0_1100:
	buffer_load_dword v0, off, s[0:3], 0 offset:288
	v_mov_b32_e32 v1, 0
	s_waitcnt vmcnt(0)
	global_store_dword v1, v0, s[6:7] offset:272
	s_cmpk_lt_u32 s11, 0x46
	s_cbranch_scc1 .LBB0_78
.LBB0_1101:
	buffer_load_dword v0, off, s[0:3], 0 offset:292
	v_mov_b32_e32 v1, 0
	s_waitcnt vmcnt(0)
	global_store_dword v1, v0, s[6:7] offset:276
	s_cmpk_lt_u32 s11, 0x47
	s_cbranch_scc1 .LBB0_79
.LBB0_1102:
	buffer_load_dword v0, off, s[0:3], 0 offset:296
	v_mov_b32_e32 v1, 0
	s_waitcnt vmcnt(0)
	global_store_dword v1, v0, s[6:7] offset:280
	s_cmpk_lt_u32 s11, 0x48
	s_cbranch_scc1 .LBB0_80
.LBB0_1103:
	buffer_load_dword v0, off, s[0:3], 0 offset:300
	v_mov_b32_e32 v1, 0
	s_waitcnt vmcnt(0)
	global_store_dword v1, v0, s[6:7] offset:284
	s_cmpk_lt_u32 s11, 0x49
	s_cbranch_scc1 .LBB0_81
.LBB0_1104:
	buffer_load_dword v0, off, s[0:3], 0 offset:304
	v_mov_b32_e32 v1, 0
	s_waitcnt vmcnt(0)
	global_store_dword v1, v0, s[6:7] offset:288
	s_cmpk_lt_u32 s11, 0x4a
	s_cbranch_scc1 .LBB0_82
.LBB0_1105:
	buffer_load_dword v0, off, s[0:3], 0 offset:308
	v_mov_b32_e32 v1, 0
	s_waitcnt vmcnt(0)
	global_store_dword v1, v0, s[6:7] offset:292
	s_cmpk_lt_u32 s11, 0x4b
	s_cbranch_scc1 .LBB0_83
.LBB0_1106:
	buffer_load_dword v0, off, s[0:3], 0 offset:312
	v_mov_b32_e32 v1, 0
	s_waitcnt vmcnt(0)
	global_store_dword v1, v0, s[6:7] offset:296
	s_cmpk_lt_u32 s11, 0x4c
	s_cbranch_scc1 .LBB0_84
.LBB0_1107:
	buffer_load_dword v0, off, s[0:3], 0 offset:316
	v_mov_b32_e32 v1, 0
	s_waitcnt vmcnt(0)
	global_store_dword v1, v0, s[6:7] offset:300
	s_cmpk_lt_u32 s11, 0x4d
	s_cbranch_scc1 .LBB0_85
.LBB0_1108:
	buffer_load_dword v0, off, s[0:3], 0 offset:320
	v_mov_b32_e32 v1, 0
	s_waitcnt vmcnt(0)
	global_store_dword v1, v0, s[6:7] offset:304
	s_cmpk_lt_u32 s11, 0x4e
	s_cbranch_scc1 .LBB0_86
.LBB0_1109:
	buffer_load_dword v0, off, s[0:3], 0 offset:324
	v_mov_b32_e32 v1, 0
	s_waitcnt vmcnt(0)
	global_store_dword v1, v0, s[6:7] offset:308
	s_cmpk_lt_u32 s11, 0x4f
	s_cbranch_scc1 .LBB0_87
.LBB0_1110:
	buffer_load_dword v0, off, s[0:3], 0 offset:328
	v_mov_b32_e32 v1, 0
	s_waitcnt vmcnt(0)
	global_store_dword v1, v0, s[6:7] offset:312
	s_cmpk_lt_u32 s11, 0x50
	s_cbranch_scc1 .LBB0_88
.LBB0_1111:
	buffer_load_dword v0, off, s[0:3], 0 offset:332
	v_mov_b32_e32 v1, 0
	s_waitcnt vmcnt(0)
	global_store_dword v1, v0, s[6:7] offset:316
	s_cmpk_lt_u32 s11, 0x51
	s_cbranch_scc1 .LBB0_89
.LBB0_1112:
	buffer_load_dword v0, off, s[0:3], 0 offset:336
	v_mov_b32_e32 v1, 0
	s_waitcnt vmcnt(0)
	global_store_dword v1, v0, s[6:7] offset:320
	s_cmpk_lt_u32 s11, 0x52
	s_cbranch_scc1 .LBB0_90
.LBB0_1113:
	buffer_load_dword v0, off, s[0:3], 0 offset:340
	v_mov_b32_e32 v1, 0
	s_waitcnt vmcnt(0)
	global_store_dword v1, v0, s[6:7] offset:324
	s_cmpk_lt_u32 s11, 0x53
	s_cbranch_scc1 .LBB0_91
.LBB0_1114:
	buffer_load_dword v0, off, s[0:3], 0 offset:344
	v_mov_b32_e32 v1, 0
	s_waitcnt vmcnt(0)
	global_store_dword v1, v0, s[6:7] offset:328
	s_cmpk_lt_u32 s11, 0x54
	s_cbranch_scc1 .LBB0_92
.LBB0_1115:
	buffer_load_dword v0, off, s[0:3], 0 offset:348
	v_mov_b32_e32 v1, 0
	s_waitcnt vmcnt(0)
	global_store_dword v1, v0, s[6:7] offset:332
	s_cmpk_lt_u32 s11, 0x55
	s_cbranch_scc1 .LBB0_93
.LBB0_1116:
	buffer_load_dword v0, off, s[0:3], 0 offset:352
	v_mov_b32_e32 v1, 0
	s_waitcnt vmcnt(0)
	global_store_dword v1, v0, s[6:7] offset:336
	s_cmpk_lt_u32 s11, 0x56
	s_cbranch_scc1 .LBB0_94
.LBB0_1117:
	buffer_load_dword v0, off, s[0:3], 0 offset:356
	v_mov_b32_e32 v1, 0
	s_waitcnt vmcnt(0)
	global_store_dword v1, v0, s[6:7] offset:340
	s_cmpk_lt_u32 s11, 0x57
	s_cbranch_scc1 .LBB0_95
.LBB0_1118:
	buffer_load_dword v0, off, s[0:3], 0 offset:360
	v_mov_b32_e32 v1, 0
	s_waitcnt vmcnt(0)
	global_store_dword v1, v0, s[6:7] offset:344
	s_cmpk_lt_u32 s11, 0x58
	s_cbranch_scc1 .LBB0_96
.LBB0_1119:
	buffer_load_dword v0, off, s[0:3], 0 offset:364
	v_mov_b32_e32 v1, 0
	s_waitcnt vmcnt(0)
	global_store_dword v1, v0, s[6:7] offset:348
	s_cmpk_lt_u32 s11, 0x59
	s_cbranch_scc1 .LBB0_97
.LBB0_1120:
	buffer_load_dword v0, off, s[0:3], 0 offset:368
	v_mov_b32_e32 v1, 0
	s_waitcnt vmcnt(0)
	global_store_dword v1, v0, s[6:7] offset:352
	s_cmpk_lt_u32 s11, 0x5a
	s_cbranch_scc1 .LBB0_98
.LBB0_1121:
	buffer_load_dword v0, off, s[0:3], 0 offset:372
	v_mov_b32_e32 v1, 0
	s_waitcnt vmcnt(0)
	global_store_dword v1, v0, s[6:7] offset:356
	s_cmpk_lt_u32 s11, 0x5b
	s_cbranch_scc1 .LBB0_99
.LBB0_1122:
	buffer_load_dword v0, off, s[0:3], 0 offset:376
	v_mov_b32_e32 v1, 0
	s_waitcnt vmcnt(0)
	global_store_dword v1, v0, s[6:7] offset:360
	s_cmpk_lt_u32 s11, 0x5c
	s_cbranch_scc1 .LBB0_100
.LBB0_1123:
	buffer_load_dword v0, off, s[0:3], 0 offset:380
	v_mov_b32_e32 v1, 0
	s_waitcnt vmcnt(0)
	global_store_dword v1, v0, s[6:7] offset:364
	s_cmpk_lt_u32 s11, 0x5d
	s_cbranch_scc1 .LBB0_101
.LBB0_1124:
	buffer_load_dword v0, off, s[0:3], 0 offset:384
	v_mov_b32_e32 v1, 0
	s_waitcnt vmcnt(0)
	global_store_dword v1, v0, s[6:7] offset:368
	s_cmpk_lt_u32 s11, 0x5e
	s_cbranch_scc1 .LBB0_102
.LBB0_1125:
	buffer_load_dword v0, off, s[0:3], 0 offset:388
	v_mov_b32_e32 v1, 0
	s_waitcnt vmcnt(0)
	global_store_dword v1, v0, s[6:7] offset:372
	s_cmpk_lt_u32 s11, 0x5f
	s_cbranch_scc1 .LBB0_103
.LBB0_1126:
	buffer_load_dword v0, off, s[0:3], 0 offset:392
	v_mov_b32_e32 v1, 0
	s_waitcnt vmcnt(0)
	global_store_dword v1, v0, s[6:7] offset:376
	s_cmpk_lt_u32 s11, 0x60
	s_cbranch_scc1 .LBB0_104
.LBB0_1127:
	buffer_load_dword v0, off, s[0:3], 0 offset:396
	v_mov_b32_e32 v1, 0
	s_waitcnt vmcnt(0)
	global_store_dword v1, v0, s[6:7] offset:380
	s_cmpk_lt_u32 s11, 0x61
	s_cbranch_scc1 .LBB0_105
.LBB0_1128:
	buffer_load_dword v0, off, s[0:3], 0 offset:400
	v_mov_b32_e32 v1, 0
	s_waitcnt vmcnt(0)
	global_store_dword v1, v0, s[6:7] offset:384
	s_cmpk_lt_u32 s11, 0x62
	s_cbranch_scc1 .LBB0_106
.LBB0_1129:
	buffer_load_dword v0, off, s[0:3], 0 offset:404
	v_mov_b32_e32 v1, 0
	s_waitcnt vmcnt(0)
	global_store_dword v1, v0, s[6:7] offset:388
	s_cmpk_lt_u32 s11, 0x63
	s_cbranch_scc1 .LBB0_107
.LBB0_1130:
	buffer_load_dword v0, off, s[0:3], 0 offset:408
	v_mov_b32_e32 v1, 0
	s_waitcnt vmcnt(0)
	global_store_dword v1, v0, s[6:7] offset:392
	s_cmpk_lt_u32 s11, 0x64
	s_cbranch_scc1 .LBB0_108
.LBB0_1131:
	buffer_load_dword v0, off, s[0:3], 0 offset:412
	v_mov_b32_e32 v1, 0
	s_waitcnt vmcnt(0)
	global_store_dword v1, v0, s[6:7] offset:396
	s_cmpk_lt_u32 s11, 0x65
	s_cbranch_scc1 .LBB0_109
.LBB0_1132:
	buffer_load_dword v0, off, s[0:3], 0 offset:416
	v_mov_b32_e32 v1, 0
	s_waitcnt vmcnt(0)
	global_store_dword v1, v0, s[6:7] offset:400
	s_cmpk_lt_u32 s11, 0x66
	s_cbranch_scc1 .LBB0_110
.LBB0_1133:
	buffer_load_dword v0, off, s[0:3], 0 offset:420
	v_mov_b32_e32 v1, 0
	s_waitcnt vmcnt(0)
	global_store_dword v1, v0, s[6:7] offset:404
	s_cmpk_lt_u32 s11, 0x67
	s_cbranch_scc1 .LBB0_111
.LBB0_1134:
	buffer_load_dword v0, off, s[0:3], 0 offset:424
	v_mov_b32_e32 v1, 0
	s_waitcnt vmcnt(0)
	global_store_dword v1, v0, s[6:7] offset:408
	s_cmpk_lt_u32 s11, 0x68
	s_cbranch_scc1 .LBB0_112
.LBB0_1135:
	buffer_load_dword v0, off, s[0:3], 0 offset:428
	v_mov_b32_e32 v1, 0
	s_waitcnt vmcnt(0)
	global_store_dword v1, v0, s[6:7] offset:412
	s_cmpk_lt_u32 s11, 0x69
	s_cbranch_scc1 .LBB0_113
.LBB0_1136:
	buffer_load_dword v0, off, s[0:3], 0 offset:432
	v_mov_b32_e32 v1, 0
	s_waitcnt vmcnt(0)
	global_store_dword v1, v0, s[6:7] offset:416
	s_cmpk_lt_u32 s11, 0x6a
	s_cbranch_scc1 .LBB0_114
.LBB0_1137:
	buffer_load_dword v0, off, s[0:3], 0 offset:436
	v_mov_b32_e32 v1, 0
	s_waitcnt vmcnt(0)
	global_store_dword v1, v0, s[6:7] offset:420
	s_cmpk_lt_u32 s11, 0x6b
	s_cbranch_scc1 .LBB0_115
.LBB0_1138:
	buffer_load_dword v0, off, s[0:3], 0 offset:440
	v_mov_b32_e32 v1, 0
	s_waitcnt vmcnt(0)
	global_store_dword v1, v0, s[6:7] offset:424
	s_cmpk_lt_u32 s11, 0x6c
	s_cbranch_scc1 .LBB0_116
.LBB0_1139:
	buffer_load_dword v0, off, s[0:3], 0 offset:444
	v_mov_b32_e32 v1, 0
	s_waitcnt vmcnt(0)
	global_store_dword v1, v0, s[6:7] offset:428
	s_cmpk_lt_u32 s11, 0x6d
	s_cbranch_scc1 .LBB0_117
.LBB0_1140:
	buffer_load_dword v0, off, s[0:3], 0 offset:448
	v_mov_b32_e32 v1, 0
	s_waitcnt vmcnt(0)
	global_store_dword v1, v0, s[6:7] offset:432
	s_cmpk_lt_u32 s11, 0x6e
	s_cbranch_scc1 .LBB0_118
.LBB0_1141:
	buffer_load_dword v0, off, s[0:3], 0 offset:452
	v_mov_b32_e32 v1, 0
	s_waitcnt vmcnt(0)
	global_store_dword v1, v0, s[6:7] offset:436
	s_cmpk_lt_u32 s11, 0x6f
	s_cbranch_scc1 .LBB0_119
.LBB0_1142:
	buffer_load_dword v0, off, s[0:3], 0 offset:456
	v_mov_b32_e32 v1, 0
	s_waitcnt vmcnt(0)
	global_store_dword v1, v0, s[6:7] offset:440
	s_cmpk_lt_u32 s11, 0x70
	s_cbranch_scc1 .LBB0_120
.LBB0_1143:
	buffer_load_dword v0, off, s[0:3], 0 offset:460
	v_mov_b32_e32 v1, 0
	s_waitcnt vmcnt(0)
	global_store_dword v1, v0, s[6:7] offset:444
	s_cmpk_lt_u32 s11, 0x71
	s_cbranch_scc1 .LBB0_121
.LBB0_1144:
	buffer_load_dword v0, off, s[0:3], 0 offset:464
	v_mov_b32_e32 v1, 0
	s_waitcnt vmcnt(0)
	global_store_dword v1, v0, s[6:7] offset:448
	s_cmpk_lt_u32 s11, 0x72
	s_cbranch_scc1 .LBB0_122
.LBB0_1145:
	buffer_load_dword v0, off, s[0:3], 0 offset:468
	v_mov_b32_e32 v1, 0
	s_waitcnt vmcnt(0)
	global_store_dword v1, v0, s[6:7] offset:452
	s_cmpk_lt_u32 s11, 0x73
	s_cbranch_scc1 .LBB0_123
.LBB0_1146:
	buffer_load_dword v0, off, s[0:3], 0 offset:472
	v_mov_b32_e32 v1, 0
	s_waitcnt vmcnt(0)
	global_store_dword v1, v0, s[6:7] offset:456
	s_cmpk_lt_u32 s11, 0x74
	s_cbranch_scc1 .LBB0_124
.LBB0_1147:
	buffer_load_dword v0, off, s[0:3], 0 offset:476
	v_mov_b32_e32 v1, 0
	s_waitcnt vmcnt(0)
	global_store_dword v1, v0, s[6:7] offset:460
	s_cmpk_lt_u32 s11, 0x75
	s_cbranch_scc1 .LBB0_125
.LBB0_1148:
	buffer_load_dword v0, off, s[0:3], 0 offset:480
	v_mov_b32_e32 v1, 0
	s_waitcnt vmcnt(0)
	global_store_dword v1, v0, s[6:7] offset:464
	s_cmpk_lt_u32 s11, 0x76
	s_cbranch_scc1 .LBB0_126
.LBB0_1149:
	buffer_load_dword v0, off, s[0:3], 0 offset:484
	v_mov_b32_e32 v1, 0
	s_waitcnt vmcnt(0)
	global_store_dword v1, v0, s[6:7] offset:468
	s_cmpk_lt_u32 s11, 0x77
	s_cbranch_scc1 .LBB0_127
.LBB0_1150:
	buffer_load_dword v0, off, s[0:3], 0 offset:488
	v_mov_b32_e32 v1, 0
	s_waitcnt vmcnt(0)
	global_store_dword v1, v0, s[6:7] offset:472
	s_cmpk_lt_u32 s11, 0x78
	s_cbranch_scc1 .LBB0_128
.LBB0_1151:
	buffer_load_dword v0, off, s[0:3], 0 offset:492
	v_mov_b32_e32 v1, 0
	s_waitcnt vmcnt(0)
	global_store_dword v1, v0, s[6:7] offset:476
	s_cmpk_lt_u32 s11, 0x79
	s_cbranch_scc1 .LBB0_129
.LBB0_1152:
	buffer_load_dword v0, off, s[0:3], 0 offset:496
	v_mov_b32_e32 v1, 0
	s_waitcnt vmcnt(0)
	global_store_dword v1, v0, s[6:7] offset:480
	s_cmpk_lt_u32 s11, 0x7a
	s_cbranch_scc1 .LBB0_130
.LBB0_1153:
	buffer_load_dword v0, off, s[0:3], 0 offset:500
	v_mov_b32_e32 v1, 0
	s_waitcnt vmcnt(0)
	global_store_dword v1, v0, s[6:7] offset:484
	s_cmpk_lt_u32 s11, 0x7b
	s_cbranch_scc1 .LBB0_131
.LBB0_1154:
	buffer_load_dword v0, off, s[0:3], 0 offset:504
	v_mov_b32_e32 v1, 0
	s_waitcnt vmcnt(0)
	global_store_dword v1, v0, s[6:7] offset:488
	s_cmpk_lt_u32 s11, 0x7c
	s_cbranch_scc1 .LBB0_132
.LBB0_1155:
	buffer_load_dword v0, off, s[0:3], 0 offset:508
	v_mov_b32_e32 v1, 0
	s_waitcnt vmcnt(0)
	global_store_dword v1, v0, s[6:7] offset:492
	s_cmpk_lt_u32 s11, 0x7d
	s_cbranch_scc1 .LBB0_133
.LBB0_1156:
	buffer_load_dword v0, off, s[0:3], 0 offset:512
	v_mov_b32_e32 v1, 0
	s_waitcnt vmcnt(0)
	global_store_dword v1, v0, s[6:7] offset:496
	s_cmpk_lt_u32 s11, 0x7e
	s_cbranch_scc1 .LBB0_134
.LBB0_1157:
	buffer_load_dword v0, off, s[0:3], 0 offset:516
	v_mov_b32_e32 v1, 0
	s_waitcnt vmcnt(0)
	global_store_dword v1, v0, s[6:7] offset:500
	s_cmpk_lt_u32 s11, 0x7f
	s_cbranch_scc1 .LBB0_135
.LBB0_1158:
	buffer_load_dword v0, off, s[0:3], 0 offset:520
	v_mov_b32_e32 v1, 0
	s_waitcnt vmcnt(0)
	global_store_dword v1, v0, s[6:7] offset:504
	s_cmpk_lt_u32 s11, 0x80
	s_cbranch_scc1 .LBB0_136
.LBB0_1159:
	buffer_load_dword v0, off, s[0:3], 0 offset:524
	v_mov_b32_e32 v1, 0
	s_waitcnt vmcnt(0)
	global_store_dword v1, v0, s[6:7] offset:508
	s_cmpk_lt_u32 s11, 0x81
	s_cbranch_scc1 .LBB0_137
.LBB0_1160:
	buffer_load_dword v0, off, s[0:3], 0 offset:528
	v_mov_b32_e32 v1, 0
	s_waitcnt vmcnt(0)
	global_store_dword v1, v0, s[6:7] offset:512
	s_cmpk_lt_u32 s11, 0x82
	s_cbranch_scc1 .LBB0_138
.LBB0_1161:
	buffer_load_dword v0, off, s[0:3], 0 offset:532
	v_mov_b32_e32 v1, 0
	s_waitcnt vmcnt(0)
	global_store_dword v1, v0, s[6:7] offset:516
	s_cmpk_lt_u32 s11, 0x83
	s_cbranch_scc1 .LBB0_139
.LBB0_1162:
	buffer_load_dword v0, off, s[0:3], 0 offset:536
	v_mov_b32_e32 v1, 0
	s_waitcnt vmcnt(0)
	global_store_dword v1, v0, s[6:7] offset:520
	s_cmpk_lt_u32 s11, 0x84
	s_cbranch_scc1 .LBB0_140
.LBB0_1163:
	buffer_load_dword v0, off, s[0:3], 0 offset:540
	v_mov_b32_e32 v1, 0
	s_waitcnt vmcnt(0)
	global_store_dword v1, v0, s[6:7] offset:524
	s_cmpk_lt_u32 s11, 0x85
	s_cbranch_scc1 .LBB0_141
.LBB0_1164:
	buffer_load_dword v0, off, s[0:3], 0 offset:544
	v_mov_b32_e32 v1, 0
	s_waitcnt vmcnt(0)
	global_store_dword v1, v0, s[6:7] offset:528
	s_cmpk_lt_u32 s11, 0x86
	s_cbranch_scc1 .LBB0_142
.LBB0_1165:
	buffer_load_dword v0, off, s[0:3], 0 offset:548
	v_mov_b32_e32 v1, 0
	s_waitcnt vmcnt(0)
	global_store_dword v1, v0, s[6:7] offset:532
	s_cmpk_lt_u32 s11, 0x87
	s_cbranch_scc1 .LBB0_143
.LBB0_1166:
	buffer_load_dword v0, off, s[0:3], 0 offset:552
	v_mov_b32_e32 v1, 0
	s_waitcnt vmcnt(0)
	global_store_dword v1, v0, s[6:7] offset:536
	s_cmpk_lt_u32 s11, 0x88
	s_cbranch_scc1 .LBB0_144
.LBB0_1167:
	buffer_load_dword v0, off, s[0:3], 0 offset:556
	v_mov_b32_e32 v1, 0
	s_waitcnt vmcnt(0)
	global_store_dword v1, v0, s[6:7] offset:540
	s_cmpk_lt_u32 s11, 0x89
	s_cbranch_scc1 .LBB0_145
.LBB0_1168:
	buffer_load_dword v0, off, s[0:3], 0 offset:560
	v_mov_b32_e32 v1, 0
	s_waitcnt vmcnt(0)
	global_store_dword v1, v0, s[6:7] offset:544
	s_cmpk_lt_u32 s11, 0x8a
	s_cbranch_scc1 .LBB0_146
.LBB0_1169:
	buffer_load_dword v0, off, s[0:3], 0 offset:564
	v_mov_b32_e32 v1, 0
	s_waitcnt vmcnt(0)
	global_store_dword v1, v0, s[6:7] offset:548
	s_cmpk_lt_u32 s11, 0x8b
	s_cbranch_scc1 .LBB0_147
.LBB0_1170:
	buffer_load_dword v0, off, s[0:3], 0 offset:568
	v_mov_b32_e32 v1, 0
	s_waitcnt vmcnt(0)
	global_store_dword v1, v0, s[6:7] offset:552
	s_cmpk_lt_u32 s11, 0x8c
	s_cbranch_scc1 .LBB0_148
.LBB0_1171:
	buffer_load_dword v0, off, s[0:3], 0 offset:572
	v_mov_b32_e32 v1, 0
	s_waitcnt vmcnt(0)
	global_store_dword v1, v0, s[6:7] offset:556
	s_cmpk_lt_u32 s11, 0x8d
	s_cbranch_scc1 .LBB0_149
.LBB0_1172:
	buffer_load_dword v0, off, s[0:3], 0 offset:576
	v_mov_b32_e32 v1, 0
	s_waitcnt vmcnt(0)
	global_store_dword v1, v0, s[6:7] offset:560
	s_cmpk_lt_u32 s11, 0x8e
	s_cbranch_scc1 .LBB0_150
.LBB0_1173:
	buffer_load_dword v0, off, s[0:3], 0 offset:580
	v_mov_b32_e32 v1, 0
	s_waitcnt vmcnt(0)
	global_store_dword v1, v0, s[6:7] offset:564
	s_cmpk_lt_u32 s11, 0x8f
	s_cbranch_scc1 .LBB0_151
.LBB0_1174:
	buffer_load_dword v0, off, s[0:3], 0 offset:584
	v_mov_b32_e32 v1, 0
	s_waitcnt vmcnt(0)
	global_store_dword v1, v0, s[6:7] offset:568
	s_cmpk_lt_u32 s11, 0x90
	s_cbranch_scc1 .LBB0_152
.LBB0_1175:
	buffer_load_dword v0, off, s[0:3], 0 offset:588
	v_mov_b32_e32 v1, 0
	s_waitcnt vmcnt(0)
	global_store_dword v1, v0, s[6:7] offset:572
	s_cmpk_lt_u32 s11, 0x91
	s_cbranch_scc1 .LBB0_153
.LBB0_1176:
	buffer_load_dword v0, off, s[0:3], 0 offset:592
	v_mov_b32_e32 v1, 0
	s_waitcnt vmcnt(0)
	global_store_dword v1, v0, s[6:7] offset:576
	s_cmpk_lt_u32 s11, 0x92
	s_cbranch_scc1 .LBB0_154
.LBB0_1177:
	buffer_load_dword v0, off, s[0:3], 0 offset:596
	v_mov_b32_e32 v1, 0
	s_waitcnt vmcnt(0)
	global_store_dword v1, v0, s[6:7] offset:580
	s_cmpk_lt_u32 s11, 0x93
	s_cbranch_scc1 .LBB0_155
.LBB0_1178:
	buffer_load_dword v0, off, s[0:3], 0 offset:600
	v_mov_b32_e32 v1, 0
	s_waitcnt vmcnt(0)
	global_store_dword v1, v0, s[6:7] offset:584
	s_cmpk_lt_u32 s11, 0x94
	s_cbranch_scc1 .LBB0_156
.LBB0_1179:
	buffer_load_dword v0, off, s[0:3], 0 offset:604
	v_mov_b32_e32 v1, 0
	s_waitcnt vmcnt(0)
	global_store_dword v1, v0, s[6:7] offset:588
	s_cmpk_lt_u32 s11, 0x95
	s_cbranch_scc1 .LBB0_157
.LBB0_1180:
	buffer_load_dword v0, off, s[0:3], 0 offset:608
	v_mov_b32_e32 v1, 0
	s_waitcnt vmcnt(0)
	global_store_dword v1, v0, s[6:7] offset:592
	s_cmpk_lt_u32 s11, 0x96
	s_cbranch_scc1 .LBB0_158
.LBB0_1181:
	buffer_load_dword v0, off, s[0:3], 0 offset:612
	v_mov_b32_e32 v1, 0
	s_waitcnt vmcnt(0)
	global_store_dword v1, v0, s[6:7] offset:596
	s_cmpk_lt_u32 s11, 0x97
	s_cbranch_scc1 .LBB0_159
.LBB0_1182:
	buffer_load_dword v0, off, s[0:3], 0 offset:616
	v_mov_b32_e32 v1, 0
	s_waitcnt vmcnt(0)
	global_store_dword v1, v0, s[6:7] offset:600
	s_cmpk_lt_u32 s11, 0x98
	s_cbranch_scc1 .LBB0_160
.LBB0_1183:
	buffer_load_dword v0, off, s[0:3], 0 offset:620
	v_mov_b32_e32 v1, 0
	s_waitcnt vmcnt(0)
	global_store_dword v1, v0, s[6:7] offset:604
	s_cmpk_lt_u32 s11, 0x99
	s_cbranch_scc1 .LBB0_161
.LBB0_1184:
	buffer_load_dword v0, off, s[0:3], 0 offset:624
	v_mov_b32_e32 v1, 0
	s_waitcnt vmcnt(0)
	global_store_dword v1, v0, s[6:7] offset:608
	s_cmpk_lt_u32 s11, 0x9a
	s_cbranch_scc1 .LBB0_162
.LBB0_1185:
	buffer_load_dword v0, off, s[0:3], 0 offset:628
	v_mov_b32_e32 v1, 0
	s_waitcnt vmcnt(0)
	global_store_dword v1, v0, s[6:7] offset:612
	s_cmpk_lt_u32 s11, 0x9b
	s_cbranch_scc1 .LBB0_163
.LBB0_1186:
	buffer_load_dword v0, off, s[0:3], 0 offset:632
	v_mov_b32_e32 v1, 0
	s_waitcnt vmcnt(0)
	global_store_dword v1, v0, s[6:7] offset:616
	s_cmpk_lt_u32 s11, 0x9c
	s_cbranch_scc1 .LBB0_164
.LBB0_1187:
	buffer_load_dword v0, off, s[0:3], 0 offset:636
	v_mov_b32_e32 v1, 0
	s_waitcnt vmcnt(0)
	global_store_dword v1, v0, s[6:7] offset:620
	s_cmpk_lt_u32 s11, 0x9d
	s_cbranch_scc1 .LBB0_165
.LBB0_1188:
	buffer_load_dword v0, off, s[0:3], 0 offset:640
	v_mov_b32_e32 v1, 0
	s_waitcnt vmcnt(0)
	global_store_dword v1, v0, s[6:7] offset:624
	s_cmpk_lt_u32 s11, 0x9e
	s_cbranch_scc1 .LBB0_166
.LBB0_1189:
	buffer_load_dword v0, off, s[0:3], 0 offset:644
	v_mov_b32_e32 v1, 0
	s_waitcnt vmcnt(0)
	global_store_dword v1, v0, s[6:7] offset:628
	s_cmpk_lt_u32 s11, 0x9f
	s_cbranch_scc1 .LBB0_167
.LBB0_1190:
	buffer_load_dword v0, off, s[0:3], 0 offset:648
	v_mov_b32_e32 v1, 0
	s_waitcnt vmcnt(0)
	global_store_dword v1, v0, s[6:7] offset:632
	s_cmpk_lt_u32 s11, 0xa0
	s_cbranch_scc1 .LBB0_168
.LBB0_1191:
	buffer_load_dword v0, off, s[0:3], 0 offset:652
	v_mov_b32_e32 v1, 0
	s_waitcnt vmcnt(0)
	global_store_dword v1, v0, s[6:7] offset:636
	s_cmpk_lt_u32 s11, 0xa1
	s_cbranch_scc1 .LBB0_169
.LBB0_1192:
	buffer_load_dword v0, off, s[0:3], 0 offset:656
	v_mov_b32_e32 v1, 0
	s_waitcnt vmcnt(0)
	global_store_dword v1, v0, s[6:7] offset:640
	s_cmpk_lt_u32 s11, 0xa2
	s_cbranch_scc1 .LBB0_170
.LBB0_1193:
	buffer_load_dword v0, off, s[0:3], 0 offset:660
	v_mov_b32_e32 v1, 0
	s_waitcnt vmcnt(0)
	global_store_dword v1, v0, s[6:7] offset:644
	s_cmpk_lt_u32 s11, 0xa3
	s_cbranch_scc1 .LBB0_171
.LBB0_1194:
	buffer_load_dword v0, off, s[0:3], 0 offset:664
	v_mov_b32_e32 v1, 0
	s_waitcnt vmcnt(0)
	global_store_dword v1, v0, s[6:7] offset:648
	s_cmpk_lt_u32 s11, 0xa4
	s_cbranch_scc1 .LBB0_172
.LBB0_1195:
	buffer_load_dword v0, off, s[0:3], 0 offset:668
	v_mov_b32_e32 v1, 0
	s_waitcnt vmcnt(0)
	global_store_dword v1, v0, s[6:7] offset:652
	s_cmpk_lt_u32 s11, 0xa5
	s_cbranch_scc1 .LBB0_173
.LBB0_1196:
	buffer_load_dword v0, off, s[0:3], 0 offset:672
	v_mov_b32_e32 v1, 0
	s_waitcnt vmcnt(0)
	global_store_dword v1, v0, s[6:7] offset:656
	s_cmpk_lt_u32 s11, 0xa6
	s_cbranch_scc1 .LBB0_174
.LBB0_1197:
	buffer_load_dword v0, off, s[0:3], 0 offset:676
	v_mov_b32_e32 v1, 0
	s_waitcnt vmcnt(0)
	global_store_dword v1, v0, s[6:7] offset:660
	s_cmpk_lt_u32 s11, 0xa7
	s_cbranch_scc1 .LBB0_175
.LBB0_1198:
	buffer_load_dword v0, off, s[0:3], 0 offset:680
	v_mov_b32_e32 v1, 0
	s_waitcnt vmcnt(0)
	global_store_dword v1, v0, s[6:7] offset:664
	s_cmpk_lt_u32 s11, 0xa8
	s_cbranch_scc1 .LBB0_176
.LBB0_1199:
	buffer_load_dword v0, off, s[0:3], 0 offset:684
	v_mov_b32_e32 v1, 0
	s_waitcnt vmcnt(0)
	global_store_dword v1, v0, s[6:7] offset:668
	s_cmpk_lt_u32 s11, 0xa9
	s_cbranch_scc1 .LBB0_177
.LBB0_1200:
	buffer_load_dword v0, off, s[0:3], 0 offset:688
	v_mov_b32_e32 v1, 0
	s_waitcnt vmcnt(0)
	global_store_dword v1, v0, s[6:7] offset:672
	s_cmpk_lt_u32 s11, 0xaa
	s_cbranch_scc1 .LBB0_178
.LBB0_1201:
	buffer_load_dword v0, off, s[0:3], 0 offset:692
	v_mov_b32_e32 v1, 0
	s_waitcnt vmcnt(0)
	global_store_dword v1, v0, s[6:7] offset:676
	s_cmpk_lt_u32 s11, 0xab
	s_cbranch_scc1 .LBB0_179
.LBB0_1202:
	buffer_load_dword v0, off, s[0:3], 0 offset:696
	v_mov_b32_e32 v1, 0
	s_waitcnt vmcnt(0)
	global_store_dword v1, v0, s[6:7] offset:680
	s_cmpk_lt_u32 s11, 0xac
	s_cbranch_scc1 .LBB0_180
.LBB0_1203:
	buffer_load_dword v0, off, s[0:3], 0 offset:700
	v_mov_b32_e32 v1, 0
	s_waitcnt vmcnt(0)
	global_store_dword v1, v0, s[6:7] offset:684
	s_cmpk_lt_u32 s11, 0xad
	s_cbranch_scc1 .LBB0_181
.LBB0_1204:
	buffer_load_dword v0, off, s[0:3], 0 offset:704
	v_mov_b32_e32 v1, 0
	s_waitcnt vmcnt(0)
	global_store_dword v1, v0, s[6:7] offset:688
	s_cmpk_lt_u32 s11, 0xae
	s_cbranch_scc1 .LBB0_182
.LBB0_1205:
	buffer_load_dword v0, off, s[0:3], 0 offset:708
	v_mov_b32_e32 v1, 0
	s_waitcnt vmcnt(0)
	global_store_dword v1, v0, s[6:7] offset:692
	s_cmpk_lt_u32 s11, 0xaf
	s_cbranch_scc1 .LBB0_183
.LBB0_1206:
	buffer_load_dword v0, off, s[0:3], 0 offset:712
	v_mov_b32_e32 v1, 0
	s_waitcnt vmcnt(0)
	global_store_dword v1, v0, s[6:7] offset:696
	s_cmpk_lt_u32 s11, 0xb0
	s_cbranch_scc1 .LBB0_184
.LBB0_1207:
	buffer_load_dword v0, off, s[0:3], 0 offset:716
	v_mov_b32_e32 v1, 0
	s_waitcnt vmcnt(0)
	global_store_dword v1, v0, s[6:7] offset:700
	s_cmpk_lt_u32 s11, 0xb1
	s_cbranch_scc1 .LBB0_185
.LBB0_1208:
	buffer_load_dword v0, off, s[0:3], 0 offset:720
	v_mov_b32_e32 v1, 0
	s_waitcnt vmcnt(0)
	global_store_dword v1, v0, s[6:7] offset:704
	s_cmpk_lt_u32 s11, 0xb2
	s_cbranch_scc1 .LBB0_186
.LBB0_1209:
	buffer_load_dword v0, off, s[0:3], 0 offset:724
	v_mov_b32_e32 v1, 0
	s_waitcnt vmcnt(0)
	global_store_dword v1, v0, s[6:7] offset:708
	s_cmpk_lt_u32 s11, 0xb3
	s_cbranch_scc1 .LBB0_187
.LBB0_1210:
	buffer_load_dword v0, off, s[0:3], 0 offset:728
	v_mov_b32_e32 v1, 0
	s_waitcnt vmcnt(0)
	global_store_dword v1, v0, s[6:7] offset:712
	s_cmpk_lt_u32 s11, 0xb4
	s_cbranch_scc1 .LBB0_188
.LBB0_1211:
	buffer_load_dword v0, off, s[0:3], 0 offset:732
	v_mov_b32_e32 v1, 0
	s_waitcnt vmcnt(0)
	global_store_dword v1, v0, s[6:7] offset:716
	s_cmpk_lt_u32 s11, 0xb5
	s_cbranch_scc1 .LBB0_189
.LBB0_1212:
	buffer_load_dword v0, off, s[0:3], 0 offset:736
	v_mov_b32_e32 v1, 0
	s_waitcnt vmcnt(0)
	global_store_dword v1, v0, s[6:7] offset:720
	s_cmpk_lt_u32 s11, 0xb6
	s_cbranch_scc1 .LBB0_190
.LBB0_1213:
	buffer_load_dword v0, off, s[0:3], 0 offset:740
	v_mov_b32_e32 v1, 0
	s_waitcnt vmcnt(0)
	global_store_dword v1, v0, s[6:7] offset:724
	s_cmpk_lt_u32 s11, 0xb7
	s_cbranch_scc1 .LBB0_191
.LBB0_1214:
	buffer_load_dword v0, off, s[0:3], 0 offset:744
	v_mov_b32_e32 v1, 0
	s_waitcnt vmcnt(0)
	global_store_dword v1, v0, s[6:7] offset:728
	s_cmpk_lt_u32 s11, 0xb8
	s_cbranch_scc1 .LBB0_192
.LBB0_1215:
	buffer_load_dword v0, off, s[0:3], 0 offset:748
	v_mov_b32_e32 v1, 0
	s_waitcnt vmcnt(0)
	global_store_dword v1, v0, s[6:7] offset:732
	s_cmpk_lt_u32 s11, 0xb9
	s_cbranch_scc1 .LBB0_193
.LBB0_1216:
	buffer_load_dword v0, off, s[0:3], 0 offset:752
	v_mov_b32_e32 v1, 0
	s_waitcnt vmcnt(0)
	global_store_dword v1, v0, s[6:7] offset:736
	s_cmpk_lt_u32 s11, 0xba
	s_cbranch_scc1 .LBB0_194
.LBB0_1217:
	buffer_load_dword v0, off, s[0:3], 0 offset:756
	v_mov_b32_e32 v1, 0
	s_waitcnt vmcnt(0)
	global_store_dword v1, v0, s[6:7] offset:740
	s_cmpk_lt_u32 s11, 0xbb
	s_cbranch_scc1 .LBB0_195
.LBB0_1218:
	buffer_load_dword v0, off, s[0:3], 0 offset:760
	v_mov_b32_e32 v1, 0
	s_waitcnt vmcnt(0)
	global_store_dword v1, v0, s[6:7] offset:744
	s_cmpk_lt_u32 s11, 0xbc
	s_cbranch_scc1 .LBB0_196
.LBB0_1219:
	buffer_load_dword v0, off, s[0:3], 0 offset:764
	v_mov_b32_e32 v1, 0
	s_waitcnt vmcnt(0)
	global_store_dword v1, v0, s[6:7] offset:748
	s_cmpk_lt_u32 s11, 0xbd
	s_cbranch_scc1 .LBB0_197
.LBB0_1220:
	buffer_load_dword v0, off, s[0:3], 0 offset:768
	v_mov_b32_e32 v1, 0
	s_waitcnt vmcnt(0)
	global_store_dword v1, v0, s[6:7] offset:752
	s_cmpk_lt_u32 s11, 0xbe
	s_cbranch_scc1 .LBB0_198
.LBB0_1221:
	buffer_load_dword v0, off, s[0:3], 0 offset:772
	v_mov_b32_e32 v1, 0
	s_waitcnt vmcnt(0)
	global_store_dword v1, v0, s[6:7] offset:756
	s_cmpk_lt_u32 s11, 0xbf
	s_cbranch_scc1 .LBB0_199
.LBB0_1222:
	buffer_load_dword v0, off, s[0:3], 0 offset:776
	v_mov_b32_e32 v1, 0
	s_waitcnt vmcnt(0)
	global_store_dword v1, v0, s[6:7] offset:760
	s_cmpk_lt_u32 s11, 0xc0
	s_cbranch_scc1 .LBB0_200
.LBB0_1223:
	buffer_load_dword v0, off, s[0:3], 0 offset:780
	v_mov_b32_e32 v1, 0
	s_waitcnt vmcnt(0)
	global_store_dword v1, v0, s[6:7] offset:764
	s_cmpk_lt_u32 s11, 0xc1
	s_cbranch_scc1 .LBB0_201
.LBB0_1224:
	buffer_load_dword v0, off, s[0:3], 0 offset:784
	v_mov_b32_e32 v1, 0
	s_waitcnt vmcnt(0)
	global_store_dword v1, v0, s[6:7] offset:768
	s_cmpk_lt_u32 s11, 0xc2
	s_cbranch_scc1 .LBB0_202
.LBB0_1225:
	buffer_load_dword v0, off, s[0:3], 0 offset:788
	v_mov_b32_e32 v1, 0
	s_waitcnt vmcnt(0)
	global_store_dword v1, v0, s[6:7] offset:772
	s_cmpk_lt_u32 s11, 0xc3
	s_cbranch_scc1 .LBB0_203
.LBB0_1226:
	buffer_load_dword v0, off, s[0:3], 0 offset:792
	v_mov_b32_e32 v1, 0
	s_waitcnt vmcnt(0)
	global_store_dword v1, v0, s[6:7] offset:776
	s_cmpk_lt_u32 s11, 0xc4
	s_cbranch_scc1 .LBB0_204
.LBB0_1227:
	buffer_load_dword v0, off, s[0:3], 0 offset:796
	v_mov_b32_e32 v1, 0
	s_waitcnt vmcnt(0)
	global_store_dword v1, v0, s[6:7] offset:780
	s_cmpk_lt_u32 s11, 0xc5
	s_cbranch_scc1 .LBB0_205
.LBB0_1228:
	buffer_load_dword v0, off, s[0:3], 0 offset:800
	v_mov_b32_e32 v1, 0
	s_waitcnt vmcnt(0)
	global_store_dword v1, v0, s[6:7] offset:784
	s_cmpk_lt_u32 s11, 0xc6
	s_cbranch_scc1 .LBB0_206
.LBB0_1229:
	buffer_load_dword v0, off, s[0:3], 0 offset:804
	v_mov_b32_e32 v1, 0
	s_waitcnt vmcnt(0)
	global_store_dword v1, v0, s[6:7] offset:788
	s_cmpk_lt_u32 s11, 0xc7
	s_cbranch_scc1 .LBB0_207
.LBB0_1230:
	buffer_load_dword v0, off, s[0:3], 0 offset:808
	v_mov_b32_e32 v1, 0
	s_waitcnt vmcnt(0)
	global_store_dword v1, v0, s[6:7] offset:792
	s_cmpk_lt_u32 s11, 0xc8
	s_cbranch_scc1 .LBB0_208
.LBB0_1231:
	buffer_load_dword v0, off, s[0:3], 0 offset:812
	v_mov_b32_e32 v1, 0
	s_waitcnt vmcnt(0)
	global_store_dword v1, v0, s[6:7] offset:796
	s_cmpk_lt_u32 s11, 0xc9
	s_cbranch_scc1 .LBB0_209
.LBB0_1232:
	buffer_load_dword v0, off, s[0:3], 0 offset:816
	v_mov_b32_e32 v1, 0
	s_waitcnt vmcnt(0)
	global_store_dword v1, v0, s[6:7] offset:800
	s_cmpk_lt_u32 s11, 0xca
	s_cbranch_scc1 .LBB0_210
.LBB0_1233:
	buffer_load_dword v0, off, s[0:3], 0 offset:820
	v_mov_b32_e32 v1, 0
	s_waitcnt vmcnt(0)
	global_store_dword v1, v0, s[6:7] offset:804
	s_cmpk_lt_u32 s11, 0xcb
	s_cbranch_scc1 .LBB0_211
.LBB0_1234:
	buffer_load_dword v0, off, s[0:3], 0 offset:824
	v_mov_b32_e32 v1, 0
	s_waitcnt vmcnt(0)
	global_store_dword v1, v0, s[6:7] offset:808
	s_cmpk_lt_u32 s11, 0xcc
	s_cbranch_scc1 .LBB0_212
.LBB0_1235:
	buffer_load_dword v0, off, s[0:3], 0 offset:828
	v_mov_b32_e32 v1, 0
	s_waitcnt vmcnt(0)
	global_store_dword v1, v0, s[6:7] offset:812
	s_cmpk_lt_u32 s11, 0xcd
	s_cbranch_scc1 .LBB0_213
.LBB0_1236:
	buffer_load_dword v0, off, s[0:3], 0 offset:832
	v_mov_b32_e32 v1, 0
	s_waitcnt vmcnt(0)
	global_store_dword v1, v0, s[6:7] offset:816
	s_cmpk_lt_u32 s11, 0xce
	s_cbranch_scc1 .LBB0_214
.LBB0_1237:
	buffer_load_dword v0, off, s[0:3], 0 offset:836
	v_mov_b32_e32 v1, 0
	s_waitcnt vmcnt(0)
	global_store_dword v1, v0, s[6:7] offset:820
	s_cmpk_lt_u32 s11, 0xcf
	s_cbranch_scc1 .LBB0_215
.LBB0_1238:
	buffer_load_dword v0, off, s[0:3], 0 offset:840
	v_mov_b32_e32 v1, 0
	s_waitcnt vmcnt(0)
	global_store_dword v1, v0, s[6:7] offset:824
	s_cmpk_lt_u32 s11, 0xd0
	s_cbranch_scc1 .LBB0_216
.LBB0_1239:
	buffer_load_dword v0, off, s[0:3], 0 offset:844
	v_mov_b32_e32 v1, 0
	s_waitcnt vmcnt(0)
	global_store_dword v1, v0, s[6:7] offset:828
	s_cmpk_lt_u32 s11, 0xd1
	s_cbranch_scc1 .LBB0_217
.LBB0_1240:
	buffer_load_dword v0, off, s[0:3], 0 offset:848
	v_mov_b32_e32 v1, 0
	s_waitcnt vmcnt(0)
	global_store_dword v1, v0, s[6:7] offset:832
	s_cmpk_lt_u32 s11, 0xd2
	s_cbranch_scc1 .LBB0_218
.LBB0_1241:
	buffer_load_dword v0, off, s[0:3], 0 offset:852
	v_mov_b32_e32 v1, 0
	s_waitcnt vmcnt(0)
	global_store_dword v1, v0, s[6:7] offset:836
	s_cmpk_lt_u32 s11, 0xd3
	s_cbranch_scc1 .LBB0_219
.LBB0_1242:
	buffer_load_dword v0, off, s[0:3], 0 offset:856
	v_mov_b32_e32 v1, 0
	s_waitcnt vmcnt(0)
	global_store_dword v1, v0, s[6:7] offset:840
	s_cmpk_lt_u32 s11, 0xd4
	s_cbranch_scc1 .LBB0_220
.LBB0_1243:
	buffer_load_dword v0, off, s[0:3], 0 offset:860
	v_mov_b32_e32 v1, 0
	s_waitcnt vmcnt(0)
	global_store_dword v1, v0, s[6:7] offset:844
	s_cmpk_lt_u32 s11, 0xd5
	s_cbranch_scc1 .LBB0_221
.LBB0_1244:
	buffer_load_dword v0, off, s[0:3], 0 offset:864
	v_mov_b32_e32 v1, 0
	s_waitcnt vmcnt(0)
	global_store_dword v1, v0, s[6:7] offset:848
	s_cmpk_lt_u32 s11, 0xd6
	s_cbranch_scc1 .LBB0_222
.LBB0_1245:
	buffer_load_dword v0, off, s[0:3], 0 offset:868
	v_mov_b32_e32 v1, 0
	s_waitcnt vmcnt(0)
	global_store_dword v1, v0, s[6:7] offset:852
	s_cmpk_lt_u32 s11, 0xd7
	s_cbranch_scc1 .LBB0_223
.LBB0_1246:
	buffer_load_dword v0, off, s[0:3], 0 offset:872
	v_mov_b32_e32 v1, 0
	s_waitcnt vmcnt(0)
	global_store_dword v1, v0, s[6:7] offset:856
	s_cmpk_lt_u32 s11, 0xd8
	s_cbranch_scc1 .LBB0_224
.LBB0_1247:
	buffer_load_dword v0, off, s[0:3], 0 offset:876
	v_mov_b32_e32 v1, 0
	s_waitcnt vmcnt(0)
	global_store_dword v1, v0, s[6:7] offset:860
	s_cmpk_lt_u32 s11, 0xd9
	s_cbranch_scc1 .LBB0_225
.LBB0_1248:
	buffer_load_dword v0, off, s[0:3], 0 offset:880
	v_mov_b32_e32 v1, 0
	s_waitcnt vmcnt(0)
	global_store_dword v1, v0, s[6:7] offset:864
	s_cmpk_lt_u32 s11, 0xda
	s_cbranch_scc1 .LBB0_226
.LBB0_1249:
	buffer_load_dword v0, off, s[0:3], 0 offset:884
	v_mov_b32_e32 v1, 0
	s_waitcnt vmcnt(0)
	global_store_dword v1, v0, s[6:7] offset:868
	s_cmpk_lt_u32 s11, 0xdb
	s_cbranch_scc1 .LBB0_227
.LBB0_1250:
	buffer_load_dword v0, off, s[0:3], 0 offset:888
	v_mov_b32_e32 v1, 0
	s_waitcnt vmcnt(0)
	global_store_dword v1, v0, s[6:7] offset:872
	s_cmpk_lt_u32 s11, 0xdc
	s_cbranch_scc1 .LBB0_228
.LBB0_1251:
	buffer_load_dword v0, off, s[0:3], 0 offset:892
	v_mov_b32_e32 v1, 0
	s_waitcnt vmcnt(0)
	global_store_dword v1, v0, s[6:7] offset:876
	s_cmpk_lt_u32 s11, 0xdd
	s_cbranch_scc1 .LBB0_229
.LBB0_1252:
	buffer_load_dword v0, off, s[0:3], 0 offset:896
	v_mov_b32_e32 v1, 0
	s_waitcnt vmcnt(0)
	global_store_dword v1, v0, s[6:7] offset:880
	s_cmpk_lt_u32 s11, 0xde
	s_cbranch_scc1 .LBB0_230
.LBB0_1253:
	buffer_load_dword v0, off, s[0:3], 0 offset:900
	v_mov_b32_e32 v1, 0
	s_waitcnt vmcnt(0)
	global_store_dword v1, v0, s[6:7] offset:884
	s_cmpk_lt_u32 s11, 0xdf
	s_cbranch_scc1 .LBB0_231
.LBB0_1254:
	buffer_load_dword v0, off, s[0:3], 0 offset:904
	v_mov_b32_e32 v1, 0
	s_waitcnt vmcnt(0)
	global_store_dword v1, v0, s[6:7] offset:888
	s_cmpk_lt_u32 s11, 0xe0
	s_cbranch_scc1 .LBB0_232
.LBB0_1255:
	buffer_load_dword v0, off, s[0:3], 0 offset:908
	v_mov_b32_e32 v1, 0
	s_waitcnt vmcnt(0)
	global_store_dword v1, v0, s[6:7] offset:892
	s_cmpk_lt_u32 s11, 0xe1
	s_cbranch_scc1 .LBB0_233
.LBB0_1256:
	buffer_load_dword v0, off, s[0:3], 0 offset:912
	v_mov_b32_e32 v1, 0
	s_waitcnt vmcnt(0)
	global_store_dword v1, v0, s[6:7] offset:896
	s_cmpk_lt_u32 s11, 0xe2
	s_cbranch_scc1 .LBB0_234
.LBB0_1257:
	buffer_load_dword v0, off, s[0:3], 0 offset:916
	v_mov_b32_e32 v1, 0
	s_waitcnt vmcnt(0)
	global_store_dword v1, v0, s[6:7] offset:900
	s_cmpk_lt_u32 s11, 0xe3
	s_cbranch_scc1 .LBB0_235
.LBB0_1258:
	buffer_load_dword v0, off, s[0:3], 0 offset:920
	v_mov_b32_e32 v1, 0
	s_waitcnt vmcnt(0)
	global_store_dword v1, v0, s[6:7] offset:904
	s_cmpk_lt_u32 s11, 0xe4
	s_cbranch_scc1 .LBB0_236
.LBB0_1259:
	buffer_load_dword v0, off, s[0:3], 0 offset:924
	v_mov_b32_e32 v1, 0
	s_waitcnt vmcnt(0)
	global_store_dword v1, v0, s[6:7] offset:908
	s_cmpk_lt_u32 s11, 0xe5
	s_cbranch_scc1 .LBB0_237
.LBB0_1260:
	buffer_load_dword v0, off, s[0:3], 0 offset:928
	v_mov_b32_e32 v1, 0
	s_waitcnt vmcnt(0)
	global_store_dword v1, v0, s[6:7] offset:912
	s_cmpk_lt_u32 s11, 0xe6
	s_cbranch_scc1 .LBB0_238
.LBB0_1261:
	buffer_load_dword v0, off, s[0:3], 0 offset:932
	v_mov_b32_e32 v1, 0
	s_waitcnt vmcnt(0)
	global_store_dword v1, v0, s[6:7] offset:916
	s_cmpk_lt_u32 s11, 0xe7
	s_cbranch_scc1 .LBB0_239
.LBB0_1262:
	buffer_load_dword v0, off, s[0:3], 0 offset:936
	v_mov_b32_e32 v1, 0
	s_waitcnt vmcnt(0)
	global_store_dword v1, v0, s[6:7] offset:920
	s_cmpk_lt_u32 s11, 0xe8
	s_cbranch_scc1 .LBB0_240
.LBB0_1263:
	buffer_load_dword v0, off, s[0:3], 0 offset:940
	v_mov_b32_e32 v1, 0
	s_waitcnt vmcnt(0)
	global_store_dword v1, v0, s[6:7] offset:924
	s_cmpk_lt_u32 s11, 0xe9
	s_cbranch_scc1 .LBB0_241
.LBB0_1264:
	buffer_load_dword v0, off, s[0:3], 0 offset:944
	v_mov_b32_e32 v1, 0
	s_waitcnt vmcnt(0)
	global_store_dword v1, v0, s[6:7] offset:928
	s_cmpk_lt_u32 s11, 0xea
	s_cbranch_scc1 .LBB0_242
.LBB0_1265:
	buffer_load_dword v0, off, s[0:3], 0 offset:948
	v_mov_b32_e32 v1, 0
	s_waitcnt vmcnt(0)
	global_store_dword v1, v0, s[6:7] offset:932
	s_cmpk_lt_u32 s11, 0xeb
	s_cbranch_scc1 .LBB0_243
.LBB0_1266:
	buffer_load_dword v0, off, s[0:3], 0 offset:952
	v_mov_b32_e32 v1, 0
	s_waitcnt vmcnt(0)
	global_store_dword v1, v0, s[6:7] offset:936
	s_cmpk_lt_u32 s11, 0xec
	s_cbranch_scc1 .LBB0_244
.LBB0_1267:
	buffer_load_dword v0, off, s[0:3], 0 offset:956
	v_mov_b32_e32 v1, 0
	s_waitcnt vmcnt(0)
	global_store_dword v1, v0, s[6:7] offset:940
	s_cmpk_lt_u32 s11, 0xed
	s_cbranch_scc1 .LBB0_245
.LBB0_1268:
	buffer_load_dword v0, off, s[0:3], 0 offset:960
	v_mov_b32_e32 v1, 0
	s_waitcnt vmcnt(0)
	global_store_dword v1, v0, s[6:7] offset:944
	s_cmpk_lt_u32 s11, 0xee
	s_cbranch_scc1 .LBB0_246
.LBB0_1269:
	buffer_load_dword v0, off, s[0:3], 0 offset:964
	v_mov_b32_e32 v1, 0
	s_waitcnt vmcnt(0)
	global_store_dword v1, v0, s[6:7] offset:948
	s_cmpk_lt_u32 s11, 0xef
	s_cbranch_scc1 .LBB0_247
.LBB0_1270:
	buffer_load_dword v0, off, s[0:3], 0 offset:968
	v_mov_b32_e32 v1, 0
	s_waitcnt vmcnt(0)
	global_store_dword v1, v0, s[6:7] offset:952
	s_cmpk_lt_u32 s11, 0xf0
	s_cbranch_scc1 .LBB0_248
.LBB0_1271:
	buffer_load_dword v0, off, s[0:3], 0 offset:972
	v_mov_b32_e32 v1, 0
	s_waitcnt vmcnt(0)
	global_store_dword v1, v0, s[6:7] offset:956
	s_cmpk_lt_u32 s11, 0xf1
	s_cbranch_scc1 .LBB0_249
.LBB0_1272:
	buffer_load_dword v0, off, s[0:3], 0 offset:976
	v_mov_b32_e32 v1, 0
	s_waitcnt vmcnt(0)
	global_store_dword v1, v0, s[6:7] offset:960
	s_cmpk_lt_u32 s11, 0xf2
	s_cbranch_scc1 .LBB0_250
.LBB0_1273:
	buffer_load_dword v0, off, s[0:3], 0 offset:980
	v_mov_b32_e32 v1, 0
	s_waitcnt vmcnt(0)
	global_store_dword v1, v0, s[6:7] offset:964
	s_cmpk_lt_u32 s11, 0xf3
	s_cbranch_scc1 .LBB0_251
.LBB0_1274:
	buffer_load_dword v0, off, s[0:3], 0 offset:984
	v_mov_b32_e32 v1, 0
	s_waitcnt vmcnt(0)
	global_store_dword v1, v0, s[6:7] offset:968
	s_cmpk_lt_u32 s11, 0xf4
	s_cbranch_scc1 .LBB0_252
.LBB0_1275:
	buffer_load_dword v0, off, s[0:3], 0 offset:988
	v_mov_b32_e32 v1, 0
	s_waitcnt vmcnt(0)
	global_store_dword v1, v0, s[6:7] offset:972
	s_cmpk_lt_u32 s11, 0xf5
	s_cbranch_scc1 .LBB0_253
.LBB0_1276:
	buffer_load_dword v0, off, s[0:3], 0 offset:992
	v_mov_b32_e32 v1, 0
	s_waitcnt vmcnt(0)
	global_store_dword v1, v0, s[6:7] offset:976
	s_cmpk_lt_u32 s11, 0xf6
	s_cbranch_scc1 .LBB0_254
.LBB0_1277:
	buffer_load_dword v0, off, s[0:3], 0 offset:996
	v_mov_b32_e32 v1, 0
	s_waitcnt vmcnt(0)
	global_store_dword v1, v0, s[6:7] offset:980
	s_cmpk_lt_u32 s11, 0xf7
	s_cbranch_scc1 .LBB0_255
.LBB0_1278:
	buffer_load_dword v0, off, s[0:3], 0 offset:1000
	v_mov_b32_e32 v1, 0
	s_waitcnt vmcnt(0)
	global_store_dword v1, v0, s[6:7] offset:984
	s_cmpk_lt_u32 s11, 0xf8
	s_cbranch_scc1 .LBB0_256
.LBB0_1279:
	buffer_load_dword v0, off, s[0:3], 0 offset:1004
	v_mov_b32_e32 v1, 0
	s_waitcnt vmcnt(0)
	global_store_dword v1, v0, s[6:7] offset:988
	s_cmpk_lt_u32 s11, 0xf9
	s_cbranch_scc1 .LBB0_257
.LBB0_1280:
	buffer_load_dword v0, off, s[0:3], 0 offset:1008
	v_mov_b32_e32 v1, 0
	s_waitcnt vmcnt(0)
	global_store_dword v1, v0, s[6:7] offset:992
	s_cmpk_lt_u32 s11, 0xfa
	s_cbranch_scc1 .LBB0_258
.LBB0_1281:
	buffer_load_dword v0, off, s[0:3], 0 offset:1012
	v_mov_b32_e32 v1, 0
	s_waitcnt vmcnt(0)
	global_store_dword v1, v0, s[6:7] offset:996
	s_cmpk_lt_u32 s11, 0xfb
	s_cbranch_scc1 .LBB0_259
.LBB0_1282:
	buffer_load_dword v0, off, s[0:3], 0 offset:1016
	v_mov_b32_e32 v1, 0
	s_waitcnt vmcnt(0)
	global_store_dword v1, v0, s[6:7] offset:1000
	s_cmpk_lt_u32 s11, 0xfc
	s_cbranch_scc1 .LBB0_260
.LBB0_1283:
	buffer_load_dword v0, off, s[0:3], 0 offset:1020
	v_mov_b32_e32 v1, 0
	s_waitcnt vmcnt(0)
	global_store_dword v1, v0, s[6:7] offset:1004
	s_cmpk_lt_u32 s11, 0xfd
	s_cbranch_scc1 .LBB0_261
.LBB0_1284:
	buffer_load_dword v0, off, s[0:3], 0 offset:1024
	v_mov_b32_e32 v1, 0
	s_waitcnt vmcnt(0)
	global_store_dword v1, v0, s[6:7] offset:1008
	s_cmpk_lt_u32 s11, 0xfe
	s_cbranch_scc1 .LBB0_262
.LBB0_1285:
	buffer_load_dword v0, off, s[0:3], 0 offset:1028
	v_mov_b32_e32 v1, 0
	s_waitcnt vmcnt(0)
	global_store_dword v1, v0, s[6:7] offset:1012
	s_cmpk_lt_u32 s11, 0xff
	s_cbranch_scc1 .LBB0_263
.LBB0_1286:
	buffer_load_dword v0, off, s[0:3], 0 offset:1032
	v_mov_b32_e32 v1, 0
	s_waitcnt vmcnt(0)
	global_store_dword v1, v0, s[6:7] offset:1016
	s_cmpk_lt_u32 s11, 0x100
	s_cbranch_scc1 .LBB0_264
.LBB0_1287:
	buffer_load_dword v0, off, s[0:3], 0 offset:1036
	v_mov_b32_e32 v1, 0
	s_waitcnt vmcnt(0)
	global_store_dword v1, v0, s[6:7] offset:1020
	s_cmpk_lt_u32 s11, 0x101
	s_cbranch_scc1 .LBB0_265
.LBB0_1288:
	buffer_load_dword v0, off, s[0:3], 0 offset:1040
	v_mov_b32_e32 v1, 0
	s_waitcnt vmcnt(0)
	global_store_dword v1, v0, s[6:7] offset:1024
	s_cmpk_lt_u32 s11, 0x102
	s_cbranch_scc1 .LBB0_266
.LBB0_1289:
	buffer_load_dword v0, off, s[0:3], 0 offset:1044
	v_mov_b32_e32 v1, 0
	s_waitcnt vmcnt(0)
	global_store_dword v1, v0, s[6:7] offset:1028
	s_cmpk_lt_u32 s11, 0x103
	s_cbranch_scc1 .LBB0_267
.LBB0_1290:
	buffer_load_dword v0, off, s[0:3], 0 offset:1048
	v_mov_b32_e32 v1, 0
	s_waitcnt vmcnt(0)
	global_store_dword v1, v0, s[6:7] offset:1032
	s_cmpk_lt_u32 s11, 0x104
	s_cbranch_scc1 .LBB0_268
.LBB0_1291:
	buffer_load_dword v0, off, s[0:3], 0 offset:1052
	v_mov_b32_e32 v1, 0
	s_waitcnt vmcnt(0)
	global_store_dword v1, v0, s[6:7] offset:1036
	s_cmpk_lt_u32 s11, 0x105
	s_cbranch_scc1 .LBB0_269
.LBB0_1292:
	buffer_load_dword v0, off, s[0:3], 0 offset:1056
	v_mov_b32_e32 v1, 0
	s_waitcnt vmcnt(0)
	global_store_dword v1, v0, s[6:7] offset:1040
	s_cmpk_lt_u32 s11, 0x106
	s_cbranch_scc1 .LBB0_270
.LBB0_1293:
	buffer_load_dword v0, off, s[0:3], 0 offset:1060
	v_mov_b32_e32 v1, 0
	s_waitcnt vmcnt(0)
	global_store_dword v1, v0, s[6:7] offset:1044
	s_cmpk_lt_u32 s11, 0x107
	s_cbranch_scc1 .LBB0_271
.LBB0_1294:
	buffer_load_dword v0, off, s[0:3], 0 offset:1064
	v_mov_b32_e32 v1, 0
	s_waitcnt vmcnt(0)
	global_store_dword v1, v0, s[6:7] offset:1048
	s_cmpk_lt_u32 s11, 0x108
	s_cbranch_scc1 .LBB0_272
.LBB0_1295:
	buffer_load_dword v0, off, s[0:3], 0 offset:1068
	v_mov_b32_e32 v1, 0
	s_waitcnt vmcnt(0)
	global_store_dword v1, v0, s[6:7] offset:1052
	s_cmpk_lt_u32 s11, 0x109
	s_cbranch_scc1 .LBB0_273
.LBB0_1296:
	buffer_load_dword v0, off, s[0:3], 0 offset:1072
	v_mov_b32_e32 v1, 0
	s_waitcnt vmcnt(0)
	global_store_dword v1, v0, s[6:7] offset:1056
	s_cmpk_lt_u32 s11, 0x10a
	s_cbranch_scc1 .LBB0_274
.LBB0_1297:
	buffer_load_dword v0, off, s[0:3], 0 offset:1076
	v_mov_b32_e32 v1, 0
	s_waitcnt vmcnt(0)
	global_store_dword v1, v0, s[6:7] offset:1060
	s_cmpk_lt_u32 s11, 0x10b
	s_cbranch_scc1 .LBB0_275
.LBB0_1298:
	buffer_load_dword v0, off, s[0:3], 0 offset:1080
	v_mov_b32_e32 v1, 0
	s_waitcnt vmcnt(0)
	global_store_dword v1, v0, s[6:7] offset:1064
	s_cmpk_lt_u32 s11, 0x10c
	s_cbranch_scc1 .LBB0_276
.LBB0_1299:
	buffer_load_dword v0, off, s[0:3], 0 offset:1084
	v_mov_b32_e32 v1, 0
	s_waitcnt vmcnt(0)
	global_store_dword v1, v0, s[6:7] offset:1068
	s_cmpk_lt_u32 s11, 0x10d
	s_cbranch_scc1 .LBB0_277
.LBB0_1300:
	buffer_load_dword v0, off, s[0:3], 0 offset:1088
	v_mov_b32_e32 v1, 0
	s_waitcnt vmcnt(0)
	global_store_dword v1, v0, s[6:7] offset:1072
	s_cmpk_lt_u32 s11, 0x10e
	s_cbranch_scc1 .LBB0_278
.LBB0_1301:
	buffer_load_dword v0, off, s[0:3], 0 offset:1092
	v_mov_b32_e32 v1, 0
	s_waitcnt vmcnt(0)
	global_store_dword v1, v0, s[6:7] offset:1076
	s_cmpk_lt_u32 s11, 0x10f
	s_cbranch_scc1 .LBB0_279
.LBB0_1302:
	buffer_load_dword v0, off, s[0:3], 0 offset:1096
	v_mov_b32_e32 v1, 0
	s_waitcnt vmcnt(0)
	global_store_dword v1, v0, s[6:7] offset:1080
	s_cmpk_lt_u32 s11, 0x110
	s_cbranch_scc1 .LBB0_280
.LBB0_1303:
	buffer_load_dword v0, off, s[0:3], 0 offset:1100
	v_mov_b32_e32 v1, 0
	s_waitcnt vmcnt(0)
	global_store_dword v1, v0, s[6:7] offset:1084
	s_cmpk_lt_u32 s11, 0x111
	s_cbranch_scc1 .LBB0_281
.LBB0_1304:
	buffer_load_dword v0, off, s[0:3], 0 offset:1104
	v_mov_b32_e32 v1, 0
	s_waitcnt vmcnt(0)
	global_store_dword v1, v0, s[6:7] offset:1088
	s_cmpk_lt_u32 s11, 0x112
	s_cbranch_scc1 .LBB0_282
.LBB0_1305:
	buffer_load_dword v0, off, s[0:3], 0 offset:1108
	v_mov_b32_e32 v1, 0
	s_waitcnt vmcnt(0)
	global_store_dword v1, v0, s[6:7] offset:1092
	s_cmpk_lt_u32 s11, 0x113
	s_cbranch_scc1 .LBB0_283
.LBB0_1306:
	buffer_load_dword v0, off, s[0:3], 0 offset:1112
	v_mov_b32_e32 v1, 0
	s_waitcnt vmcnt(0)
	global_store_dword v1, v0, s[6:7] offset:1096
	s_cmpk_lt_u32 s11, 0x114
	s_cbranch_scc1 .LBB0_284
.LBB0_1307:
	buffer_load_dword v0, off, s[0:3], 0 offset:1116
	v_mov_b32_e32 v1, 0
	s_waitcnt vmcnt(0)
	global_store_dword v1, v0, s[6:7] offset:1100
	s_cmpk_lt_u32 s11, 0x115
	s_cbranch_scc1 .LBB0_285
.LBB0_1308:
	buffer_load_dword v0, off, s[0:3], 0 offset:1120
	v_mov_b32_e32 v1, 0
	s_waitcnt vmcnt(0)
	global_store_dword v1, v0, s[6:7] offset:1104
	s_cmpk_lt_u32 s11, 0x116
	s_cbranch_scc1 .LBB0_286
.LBB0_1309:
	buffer_load_dword v0, off, s[0:3], 0 offset:1124
	v_mov_b32_e32 v1, 0
	s_waitcnt vmcnt(0)
	global_store_dword v1, v0, s[6:7] offset:1108
	s_cmpk_lt_u32 s11, 0x117
	s_cbranch_scc1 .LBB0_287
.LBB0_1310:
	buffer_load_dword v0, off, s[0:3], 0 offset:1128
	v_mov_b32_e32 v1, 0
	s_waitcnt vmcnt(0)
	global_store_dword v1, v0, s[6:7] offset:1112
	s_cmpk_lt_u32 s11, 0x118
	s_cbranch_scc1 .LBB0_288
.LBB0_1311:
	buffer_load_dword v0, off, s[0:3], 0 offset:1132
	v_mov_b32_e32 v1, 0
	s_waitcnt vmcnt(0)
	global_store_dword v1, v0, s[6:7] offset:1116
	s_cmpk_lt_u32 s11, 0x119
	s_cbranch_scc1 .LBB0_289
.LBB0_1312:
	buffer_load_dword v0, off, s[0:3], 0 offset:1136
	v_mov_b32_e32 v1, 0
	s_waitcnt vmcnt(0)
	global_store_dword v1, v0, s[6:7] offset:1120
	s_cmpk_lt_u32 s11, 0x11a
	s_cbranch_scc1 .LBB0_290
.LBB0_1313:
	buffer_load_dword v0, off, s[0:3], 0 offset:1140
	v_mov_b32_e32 v1, 0
	s_waitcnt vmcnt(0)
	global_store_dword v1, v0, s[6:7] offset:1124
	s_cmpk_lt_u32 s11, 0x11b
	s_cbranch_scc1 .LBB0_291
.LBB0_1314:
	buffer_load_dword v0, off, s[0:3], 0 offset:1144
	v_mov_b32_e32 v1, 0
	s_waitcnt vmcnt(0)
	global_store_dword v1, v0, s[6:7] offset:1128
	s_cmpk_lt_u32 s11, 0x11c
	s_cbranch_scc1 .LBB0_292
.LBB0_1315:
	buffer_load_dword v0, off, s[0:3], 0 offset:1148
	v_mov_b32_e32 v1, 0
	s_waitcnt vmcnt(0)
	global_store_dword v1, v0, s[6:7] offset:1132
	s_cmpk_lt_u32 s11, 0x11d
	s_cbranch_scc1 .LBB0_293
.LBB0_1316:
	buffer_load_dword v0, off, s[0:3], 0 offset:1152
	v_mov_b32_e32 v1, 0
	s_waitcnt vmcnt(0)
	global_store_dword v1, v0, s[6:7] offset:1136
	s_cmpk_lt_u32 s11, 0x11e
	s_cbranch_scc1 .LBB0_294
.LBB0_1317:
	buffer_load_dword v0, off, s[0:3], 0 offset:1156
	v_mov_b32_e32 v1, 0
	s_waitcnt vmcnt(0)
	global_store_dword v1, v0, s[6:7] offset:1140
	s_cmpk_lt_u32 s11, 0x11f
	s_cbranch_scc1 .LBB0_295
.LBB0_1318:
	buffer_load_dword v0, off, s[0:3], 0 offset:1160
	v_mov_b32_e32 v1, 0
	s_waitcnt vmcnt(0)
	global_store_dword v1, v0, s[6:7] offset:1144
	s_cmpk_lt_u32 s11, 0x120
	s_cbranch_scc1 .LBB0_296
.LBB0_1319:
	buffer_load_dword v0, off, s[0:3], 0 offset:1164
	v_mov_b32_e32 v1, 0
	s_waitcnt vmcnt(0)
	global_store_dword v1, v0, s[6:7] offset:1148
	s_cmpk_lt_u32 s11, 0x121
	s_cbranch_scc1 .LBB0_297
.LBB0_1320:
	buffer_load_dword v0, off, s[0:3], 0 offset:1168
	v_mov_b32_e32 v1, 0
	s_waitcnt vmcnt(0)
	global_store_dword v1, v0, s[6:7] offset:1152
	s_cmpk_lt_u32 s11, 0x122
	s_cbranch_scc1 .LBB0_298
.LBB0_1321:
	buffer_load_dword v0, off, s[0:3], 0 offset:1172
	v_mov_b32_e32 v1, 0
	s_waitcnt vmcnt(0)
	global_store_dword v1, v0, s[6:7] offset:1156
	s_cmpk_lt_u32 s11, 0x123
	s_cbranch_scc1 .LBB0_299
.LBB0_1322:
	buffer_load_dword v0, off, s[0:3], 0 offset:1176
	v_mov_b32_e32 v1, 0
	s_waitcnt vmcnt(0)
	global_store_dword v1, v0, s[6:7] offset:1160
	s_cmpk_lt_u32 s11, 0x124
	s_cbranch_scc1 .LBB0_300
.LBB0_1323:
	buffer_load_dword v0, off, s[0:3], 0 offset:1180
	v_mov_b32_e32 v1, 0
	s_waitcnt vmcnt(0)
	global_store_dword v1, v0, s[6:7] offset:1164
	s_cmpk_lt_u32 s11, 0x125
	s_cbranch_scc1 .LBB0_301
.LBB0_1324:
	buffer_load_dword v0, off, s[0:3], 0 offset:1184
	v_mov_b32_e32 v1, 0
	s_waitcnt vmcnt(0)
	global_store_dword v1, v0, s[6:7] offset:1168
	s_cmpk_lt_u32 s11, 0x126
	s_cbranch_scc1 .LBB0_302
.LBB0_1325:
	buffer_load_dword v0, off, s[0:3], 0 offset:1188
	v_mov_b32_e32 v1, 0
	s_waitcnt vmcnt(0)
	global_store_dword v1, v0, s[6:7] offset:1172
	s_cmpk_lt_u32 s11, 0x127
	s_cbranch_scc1 .LBB0_303
.LBB0_1326:
	buffer_load_dword v0, off, s[0:3], 0 offset:1192
	v_mov_b32_e32 v1, 0
	s_waitcnt vmcnt(0)
	global_store_dword v1, v0, s[6:7] offset:1176
	s_cmpk_lt_u32 s11, 0x128
	s_cbranch_scc1 .LBB0_304
.LBB0_1327:
	buffer_load_dword v0, off, s[0:3], 0 offset:1196
	v_mov_b32_e32 v1, 0
	s_waitcnt vmcnt(0)
	global_store_dword v1, v0, s[6:7] offset:1180
	s_cmpk_lt_u32 s11, 0x129
	s_cbranch_scc1 .LBB0_305
.LBB0_1328:
	buffer_load_dword v0, off, s[0:3], 0 offset:1200
	v_mov_b32_e32 v1, 0
	s_waitcnt vmcnt(0)
	global_store_dword v1, v0, s[6:7] offset:1184
	s_cmpk_lt_u32 s11, 0x12a
	s_cbranch_scc1 .LBB0_306
.LBB0_1329:
	buffer_load_dword v0, off, s[0:3], 0 offset:1204
	v_mov_b32_e32 v1, 0
	s_waitcnt vmcnt(0)
	global_store_dword v1, v0, s[6:7] offset:1188
	s_cmpk_lt_u32 s11, 0x12b
	s_cbranch_scc1 .LBB0_307
.LBB0_1330:
	buffer_load_dword v0, off, s[0:3], 0 offset:1208
	v_mov_b32_e32 v1, 0
	s_waitcnt vmcnt(0)
	global_store_dword v1, v0, s[6:7] offset:1192
	s_cmpk_lt_u32 s11, 0x12c
	s_cbranch_scc1 .LBB0_308
.LBB0_1331:
	buffer_load_dword v0, off, s[0:3], 0 offset:1212
	v_mov_b32_e32 v1, 0
	s_waitcnt vmcnt(0)
	global_store_dword v1, v0, s[6:7] offset:1196
	s_cmpk_lt_u32 s11, 0x12d
	s_cbranch_scc1 .LBB0_309
.LBB0_1332:
	buffer_load_dword v0, off, s[0:3], 0 offset:1216
	v_mov_b32_e32 v1, 0
	s_waitcnt vmcnt(0)
	global_store_dword v1, v0, s[6:7] offset:1200
	s_cmpk_lt_u32 s11, 0x12e
	s_cbranch_scc1 .LBB0_310
.LBB0_1333:
	buffer_load_dword v0, off, s[0:3], 0 offset:1220
	v_mov_b32_e32 v1, 0
	s_waitcnt vmcnt(0)
	global_store_dword v1, v0, s[6:7] offset:1204
	s_cmpk_lt_u32 s11, 0x12f
	s_cbranch_scc1 .LBB0_311
.LBB0_1334:
	buffer_load_dword v0, off, s[0:3], 0 offset:1224
	v_mov_b32_e32 v1, 0
	s_waitcnt vmcnt(0)
	global_store_dword v1, v0, s[6:7] offset:1208
	s_cmpk_lt_u32 s11, 0x130
	s_cbranch_scc1 .LBB0_312
.LBB0_1335:
	buffer_load_dword v0, off, s[0:3], 0 offset:1228
	v_mov_b32_e32 v1, 0
	s_waitcnt vmcnt(0)
	global_store_dword v1, v0, s[6:7] offset:1212
	s_cmpk_lt_u32 s11, 0x131
	s_cbranch_scc1 .LBB0_313
.LBB0_1336:
	buffer_load_dword v0, off, s[0:3], 0 offset:1232
	v_mov_b32_e32 v1, 0
	s_waitcnt vmcnt(0)
	global_store_dword v1, v0, s[6:7] offset:1216
	s_cmpk_lt_u32 s11, 0x132
	s_cbranch_scc1 .LBB0_314
.LBB0_1337:
	buffer_load_dword v0, off, s[0:3], 0 offset:1236
	v_mov_b32_e32 v1, 0
	s_waitcnt vmcnt(0)
	global_store_dword v1, v0, s[6:7] offset:1220
	s_cmpk_lt_u32 s11, 0x133
	s_cbranch_scc1 .LBB0_315
.LBB0_1338:
	buffer_load_dword v0, off, s[0:3], 0 offset:1240
	v_mov_b32_e32 v1, 0
	s_waitcnt vmcnt(0)
	global_store_dword v1, v0, s[6:7] offset:1224
	s_cmpk_lt_u32 s11, 0x134
	s_cbranch_scc1 .LBB0_316
.LBB0_1339:
	buffer_load_dword v0, off, s[0:3], 0 offset:1244
	v_mov_b32_e32 v1, 0
	s_waitcnt vmcnt(0)
	global_store_dword v1, v0, s[6:7] offset:1228
	s_cmpk_lt_u32 s11, 0x135
	s_cbranch_scc1 .LBB0_317
.LBB0_1340:
	buffer_load_dword v0, off, s[0:3], 0 offset:1248
	v_mov_b32_e32 v1, 0
	s_waitcnt vmcnt(0)
	global_store_dword v1, v0, s[6:7] offset:1232
	s_cmpk_lt_u32 s11, 0x136
	s_cbranch_scc1 .LBB0_318
.LBB0_1341:
	buffer_load_dword v0, off, s[0:3], 0 offset:1252
	v_mov_b32_e32 v1, 0
	s_waitcnt vmcnt(0)
	global_store_dword v1, v0, s[6:7] offset:1236
	s_cmpk_lt_u32 s11, 0x137
	s_cbranch_scc1 .LBB0_319
.LBB0_1342:
	buffer_load_dword v0, off, s[0:3], 0 offset:1256
	v_mov_b32_e32 v1, 0
	s_waitcnt vmcnt(0)
	global_store_dword v1, v0, s[6:7] offset:1240
	s_cmpk_lt_u32 s11, 0x138
	s_cbranch_scc1 .LBB0_320
.LBB0_1343:
	buffer_load_dword v0, off, s[0:3], 0 offset:1260
	v_mov_b32_e32 v1, 0
	s_waitcnt vmcnt(0)
	global_store_dword v1, v0, s[6:7] offset:1244
	s_cmpk_lt_u32 s11, 0x139
	s_cbranch_scc1 .LBB0_321
.LBB0_1344:
	buffer_load_dword v0, off, s[0:3], 0 offset:1264
	v_mov_b32_e32 v1, 0
	s_waitcnt vmcnt(0)
	global_store_dword v1, v0, s[6:7] offset:1248
	s_cmpk_lt_u32 s11, 0x13a
	s_cbranch_scc1 .LBB0_322
.LBB0_1345:
	buffer_load_dword v0, off, s[0:3], 0 offset:1268
	v_mov_b32_e32 v1, 0
	s_waitcnt vmcnt(0)
	global_store_dword v1, v0, s[6:7] offset:1252
	s_cmpk_lt_u32 s11, 0x13b
	s_cbranch_scc1 .LBB0_323
.LBB0_1346:
	buffer_load_dword v0, off, s[0:3], 0 offset:1272
	v_mov_b32_e32 v1, 0
	s_waitcnt vmcnt(0)
	global_store_dword v1, v0, s[6:7] offset:1256
	s_cmpk_lt_u32 s11, 0x13c
	s_cbranch_scc1 .LBB0_324
.LBB0_1347:
	buffer_load_dword v0, off, s[0:3], 0 offset:1276
	v_mov_b32_e32 v1, 0
	s_waitcnt vmcnt(0)
	global_store_dword v1, v0, s[6:7] offset:1260
	s_cmpk_lt_u32 s11, 0x13d
	s_cbranch_scc1 .LBB0_325
.LBB0_1348:
	buffer_load_dword v0, off, s[0:3], 0 offset:1280
	v_mov_b32_e32 v1, 0
	s_waitcnt vmcnt(0)
	global_store_dword v1, v0, s[6:7] offset:1264
	s_cmpk_lt_u32 s11, 0x13e
	s_cbranch_scc1 .LBB0_326
.LBB0_1349:
	buffer_load_dword v0, off, s[0:3], 0 offset:1284
	v_mov_b32_e32 v1, 0
	s_waitcnt vmcnt(0)
	global_store_dword v1, v0, s[6:7] offset:1268
	s_cmpk_lt_u32 s11, 0x13f
	s_cbranch_scc1 .LBB0_327
.LBB0_1350:
	buffer_load_dword v0, off, s[0:3], 0 offset:1288
	v_mov_b32_e32 v1, 0
	s_waitcnt vmcnt(0)
	global_store_dword v1, v0, s[6:7] offset:1272
	s_cmpk_lt_u32 s11, 0x140
	s_cbranch_scc1 .LBB0_328
.LBB0_1351:
	buffer_load_dword v0, off, s[0:3], 0 offset:1292
	v_mov_b32_e32 v1, 0
	s_waitcnt vmcnt(0)
	global_store_dword v1, v0, s[6:7] offset:1276
	s_cmpk_lt_u32 s11, 0x141
	s_cbranch_scc1 .LBB0_329
.LBB0_1352:
	buffer_load_dword v0, off, s[0:3], 0 offset:1296
	v_mov_b32_e32 v1, 0
	s_waitcnt vmcnt(0)
	global_store_dword v1, v0, s[6:7] offset:1280
	s_cmpk_lt_u32 s11, 0x142
	s_cbranch_scc1 .LBB0_330
.LBB0_1353:
	buffer_load_dword v0, off, s[0:3], 0 offset:1300
	v_mov_b32_e32 v1, 0
	s_waitcnt vmcnt(0)
	global_store_dword v1, v0, s[6:7] offset:1284
	s_cmpk_lt_u32 s11, 0x143
	s_cbranch_scc1 .LBB0_331
.LBB0_1354:
	buffer_load_dword v0, off, s[0:3], 0 offset:1304
	v_mov_b32_e32 v1, 0
	s_waitcnt vmcnt(0)
	global_store_dword v1, v0, s[6:7] offset:1288
	s_cmpk_lt_u32 s11, 0x144
	s_cbranch_scc1 .LBB0_332
.LBB0_1355:
	buffer_load_dword v0, off, s[0:3], 0 offset:1308
	v_mov_b32_e32 v1, 0
	s_waitcnt vmcnt(0)
	global_store_dword v1, v0, s[6:7] offset:1292
	s_cmpk_lt_u32 s11, 0x145
	s_cbranch_scc1 .LBB0_333
.LBB0_1356:
	buffer_load_dword v0, off, s[0:3], 0 offset:1312
	v_mov_b32_e32 v1, 0
	s_waitcnt vmcnt(0)
	global_store_dword v1, v0, s[6:7] offset:1296
	s_cmpk_lt_u32 s11, 0x146
	s_cbranch_scc1 .LBB0_334
.LBB0_1357:
	buffer_load_dword v0, off, s[0:3], 0 offset:1316
	v_mov_b32_e32 v1, 0
	s_waitcnt vmcnt(0)
	global_store_dword v1, v0, s[6:7] offset:1300
	s_cmpk_lt_u32 s11, 0x147
	s_cbranch_scc1 .LBB0_335
.LBB0_1358:
	buffer_load_dword v0, off, s[0:3], 0 offset:1320
	v_mov_b32_e32 v1, 0
	s_waitcnt vmcnt(0)
	global_store_dword v1, v0, s[6:7] offset:1304
	s_cmpk_lt_u32 s11, 0x148
	s_cbranch_scc1 .LBB0_336
.LBB0_1359:
	buffer_load_dword v0, off, s[0:3], 0 offset:1324
	v_mov_b32_e32 v1, 0
	s_waitcnt vmcnt(0)
	global_store_dword v1, v0, s[6:7] offset:1308
	s_cmpk_lt_u32 s11, 0x149
	s_cbranch_scc1 .LBB0_337
.LBB0_1360:
	buffer_load_dword v0, off, s[0:3], 0 offset:1328
	v_mov_b32_e32 v1, 0
	s_waitcnt vmcnt(0)
	global_store_dword v1, v0, s[6:7] offset:1312
	s_cmpk_lt_u32 s11, 0x14a
	s_cbranch_scc1 .LBB0_338
.LBB0_1361:
	buffer_load_dword v0, off, s[0:3], 0 offset:1332
	v_mov_b32_e32 v1, 0
	s_waitcnt vmcnt(0)
	global_store_dword v1, v0, s[6:7] offset:1316
	s_cmpk_lt_u32 s11, 0x14b
	s_cbranch_scc1 .LBB0_339
.LBB0_1362:
	buffer_load_dword v0, off, s[0:3], 0 offset:1336
	v_mov_b32_e32 v1, 0
	s_waitcnt vmcnt(0)
	global_store_dword v1, v0, s[6:7] offset:1320
	s_cmpk_lt_u32 s11, 0x14c
	s_cbranch_scc1 .LBB0_340
.LBB0_1363:
	buffer_load_dword v0, off, s[0:3], 0 offset:1340
	v_mov_b32_e32 v1, 0
	s_waitcnt vmcnt(0)
	global_store_dword v1, v0, s[6:7] offset:1324
	s_cmpk_lt_u32 s11, 0x14d
	s_cbranch_scc1 .LBB0_341
.LBB0_1364:
	buffer_load_dword v0, off, s[0:3], 0 offset:1344
	v_mov_b32_e32 v1, 0
	s_waitcnt vmcnt(0)
	global_store_dword v1, v0, s[6:7] offset:1328
	s_cmpk_lt_u32 s11, 0x14e
	s_cbranch_scc1 .LBB0_342
.LBB0_1365:
	buffer_load_dword v0, off, s[0:3], 0 offset:1348
	v_mov_b32_e32 v1, 0
	s_waitcnt vmcnt(0)
	global_store_dword v1, v0, s[6:7] offset:1332
	s_cmpk_lt_u32 s11, 0x14f
	s_cbranch_scc1 .LBB0_343
.LBB0_1366:
	buffer_load_dword v0, off, s[0:3], 0 offset:1352
	v_mov_b32_e32 v1, 0
	s_waitcnt vmcnt(0)
	global_store_dword v1, v0, s[6:7] offset:1336
	s_cmpk_lt_u32 s11, 0x150
	s_cbranch_scc1 .LBB0_344
.LBB0_1367:
	buffer_load_dword v0, off, s[0:3], 0 offset:1356
	v_mov_b32_e32 v1, 0
	s_waitcnt vmcnt(0)
	global_store_dword v1, v0, s[6:7] offset:1340
	s_cmpk_lt_u32 s11, 0x151
	s_cbranch_scc1 .LBB0_345
.LBB0_1368:
	buffer_load_dword v0, off, s[0:3], 0 offset:1360
	v_mov_b32_e32 v1, 0
	s_waitcnt vmcnt(0)
	global_store_dword v1, v0, s[6:7] offset:1344
	s_cmpk_lt_u32 s11, 0x152
	s_cbranch_scc1 .LBB0_346
.LBB0_1369:
	buffer_load_dword v0, off, s[0:3], 0 offset:1364
	v_mov_b32_e32 v1, 0
	s_waitcnt vmcnt(0)
	global_store_dword v1, v0, s[6:7] offset:1348
	s_cmpk_lt_u32 s11, 0x153
	s_cbranch_scc1 .LBB0_347
.LBB0_1370:
	buffer_load_dword v0, off, s[0:3], 0 offset:1368
	v_mov_b32_e32 v1, 0
	s_waitcnt vmcnt(0)
	global_store_dword v1, v0, s[6:7] offset:1352
	s_cmpk_lt_u32 s11, 0x154
	s_cbranch_scc1 .LBB0_348
.LBB0_1371:
	buffer_load_dword v0, off, s[0:3], 0 offset:1372
	v_mov_b32_e32 v1, 0
	s_waitcnt vmcnt(0)
	global_store_dword v1, v0, s[6:7] offset:1356
	s_cmpk_lt_u32 s11, 0x155
	s_cbranch_scc1 .LBB0_349
.LBB0_1372:
	buffer_load_dword v0, off, s[0:3], 0 offset:1376
	v_mov_b32_e32 v1, 0
	s_waitcnt vmcnt(0)
	global_store_dword v1, v0, s[6:7] offset:1360
	s_cmpk_lt_u32 s11, 0x156
	s_cbranch_scc1 .LBB0_350
.LBB0_1373:
	buffer_load_dword v0, off, s[0:3], 0 offset:1380
	v_mov_b32_e32 v1, 0
	s_waitcnt vmcnt(0)
	global_store_dword v1, v0, s[6:7] offset:1364
	s_cmpk_lt_u32 s11, 0x157
	s_cbranch_scc1 .LBB0_351
.LBB0_1374:
	buffer_load_dword v0, off, s[0:3], 0 offset:1384
	v_mov_b32_e32 v1, 0
	s_waitcnt vmcnt(0)
	global_store_dword v1, v0, s[6:7] offset:1368
	s_cmpk_lt_u32 s11, 0x158
	s_cbranch_scc1 .LBB0_352
.LBB0_1375:
	buffer_load_dword v0, off, s[0:3], 0 offset:1388
	v_mov_b32_e32 v1, 0
	s_waitcnt vmcnt(0)
	global_store_dword v1, v0, s[6:7] offset:1372
	s_cmpk_lt_u32 s11, 0x159
	s_cbranch_scc1 .LBB0_353
.LBB0_1376:
	buffer_load_dword v0, off, s[0:3], 0 offset:1392
	v_mov_b32_e32 v1, 0
	s_waitcnt vmcnt(0)
	global_store_dword v1, v0, s[6:7] offset:1376
	s_cmpk_lt_u32 s11, 0x15a
	s_cbranch_scc1 .LBB0_354
.LBB0_1377:
	buffer_load_dword v0, off, s[0:3], 0 offset:1396
	v_mov_b32_e32 v1, 0
	s_waitcnt vmcnt(0)
	global_store_dword v1, v0, s[6:7] offset:1380
	s_cmpk_lt_u32 s11, 0x15b
	s_cbranch_scc1 .LBB0_355
.LBB0_1378:
	buffer_load_dword v0, off, s[0:3], 0 offset:1400
	v_mov_b32_e32 v1, 0
	s_waitcnt vmcnt(0)
	global_store_dword v1, v0, s[6:7] offset:1384
	s_cmpk_lt_u32 s11, 0x15c
	s_cbranch_scc1 .LBB0_356
.LBB0_1379:
	buffer_load_dword v0, off, s[0:3], 0 offset:1404
	v_mov_b32_e32 v1, 0
	s_waitcnt vmcnt(0)
	global_store_dword v1, v0, s[6:7] offset:1388
	s_cmpk_lt_u32 s11, 0x15d
	s_cbranch_scc1 .LBB0_357
.LBB0_1380:
	buffer_load_dword v0, off, s[0:3], 0 offset:1408
	v_mov_b32_e32 v1, 0
	s_waitcnt vmcnt(0)
	global_store_dword v1, v0, s[6:7] offset:1392
	s_cmpk_lt_u32 s11, 0x15e
	s_cbranch_scc1 .LBB0_358
.LBB0_1381:
	buffer_load_dword v0, off, s[0:3], 0 offset:1412
	v_mov_b32_e32 v1, 0
	s_waitcnt vmcnt(0)
	global_store_dword v1, v0, s[6:7] offset:1396
	s_cmpk_lt_u32 s11, 0x15f
	s_cbranch_scc1 .LBB0_359
.LBB0_1382:
	buffer_load_dword v0, off, s[0:3], 0 offset:1416
	v_mov_b32_e32 v1, 0
	s_waitcnt vmcnt(0)
	global_store_dword v1, v0, s[6:7] offset:1400
	s_cmpk_lt_u32 s11, 0x160
	s_cbranch_scc1 .LBB0_360
.LBB0_1383:
	buffer_load_dword v0, off, s[0:3], 0 offset:1420
	v_mov_b32_e32 v1, 0
	s_waitcnt vmcnt(0)
	global_store_dword v1, v0, s[6:7] offset:1404
	s_cmpk_lt_u32 s11, 0x161
	s_cbranch_scc1 .LBB0_361
.LBB0_1384:
	buffer_load_dword v0, off, s[0:3], 0 offset:1424
	v_mov_b32_e32 v1, 0
	s_waitcnt vmcnt(0)
	global_store_dword v1, v0, s[6:7] offset:1408
	s_cmpk_lt_u32 s11, 0x162
	s_cbranch_scc1 .LBB0_362
.LBB0_1385:
	buffer_load_dword v0, off, s[0:3], 0 offset:1428
	v_mov_b32_e32 v1, 0
	s_waitcnt vmcnt(0)
	global_store_dword v1, v0, s[6:7] offset:1412
	s_cmpk_lt_u32 s11, 0x163
	s_cbranch_scc1 .LBB0_363
.LBB0_1386:
	buffer_load_dword v0, off, s[0:3], 0 offset:1432
	v_mov_b32_e32 v1, 0
	s_waitcnt vmcnt(0)
	global_store_dword v1, v0, s[6:7] offset:1416
	s_cmpk_lt_u32 s11, 0x164
	s_cbranch_scc1 .LBB0_364
.LBB0_1387:
	buffer_load_dword v0, off, s[0:3], 0 offset:1436
	v_mov_b32_e32 v1, 0
	s_waitcnt vmcnt(0)
	global_store_dword v1, v0, s[6:7] offset:1420
	s_cmpk_lt_u32 s11, 0x165
	s_cbranch_scc1 .LBB0_365
.LBB0_1388:
	buffer_load_dword v0, off, s[0:3], 0 offset:1440
	v_mov_b32_e32 v1, 0
	s_waitcnt vmcnt(0)
	global_store_dword v1, v0, s[6:7] offset:1424
	s_cmpk_lt_u32 s11, 0x166
	s_cbranch_scc1 .LBB0_366
.LBB0_1389:
	buffer_load_dword v0, off, s[0:3], 0 offset:1444
	v_mov_b32_e32 v1, 0
	s_waitcnt vmcnt(0)
	global_store_dword v1, v0, s[6:7] offset:1428
	s_cmpk_lt_u32 s11, 0x167
	s_cbranch_scc1 .LBB0_367
.LBB0_1390:
	buffer_load_dword v0, off, s[0:3], 0 offset:1448
	v_mov_b32_e32 v1, 0
	s_waitcnt vmcnt(0)
	global_store_dword v1, v0, s[6:7] offset:1432
	s_cmpk_lt_u32 s11, 0x168
	s_cbranch_scc1 .LBB0_368
.LBB0_1391:
	buffer_load_dword v0, off, s[0:3], 0 offset:1452
	v_mov_b32_e32 v1, 0
	s_waitcnt vmcnt(0)
	global_store_dword v1, v0, s[6:7] offset:1436
	s_cmpk_lt_u32 s11, 0x169
	s_cbranch_scc1 .LBB0_369
.LBB0_1392:
	buffer_load_dword v0, off, s[0:3], 0 offset:1456
	v_mov_b32_e32 v1, 0
	s_waitcnt vmcnt(0)
	global_store_dword v1, v0, s[6:7] offset:1440
	s_cmpk_lt_u32 s11, 0x16a
	s_cbranch_scc1 .LBB0_370
.LBB0_1393:
	buffer_load_dword v0, off, s[0:3], 0 offset:1460
	v_mov_b32_e32 v1, 0
	s_waitcnt vmcnt(0)
	global_store_dword v1, v0, s[6:7] offset:1444
	s_cmpk_lt_u32 s11, 0x16b
	s_cbranch_scc1 .LBB0_371
.LBB0_1394:
	buffer_load_dword v0, off, s[0:3], 0 offset:1464
	v_mov_b32_e32 v1, 0
	s_waitcnt vmcnt(0)
	global_store_dword v1, v0, s[6:7] offset:1448
	s_cmpk_lt_u32 s11, 0x16c
	s_cbranch_scc1 .LBB0_372
.LBB0_1395:
	buffer_load_dword v0, off, s[0:3], 0 offset:1468
	v_mov_b32_e32 v1, 0
	s_waitcnt vmcnt(0)
	global_store_dword v1, v0, s[6:7] offset:1452
	s_cmpk_lt_u32 s11, 0x16d
	s_cbranch_scc1 .LBB0_373
.LBB0_1396:
	buffer_load_dword v0, off, s[0:3], 0 offset:1472
	v_mov_b32_e32 v1, 0
	s_waitcnt vmcnt(0)
	global_store_dword v1, v0, s[6:7] offset:1456
	s_cmpk_lt_u32 s11, 0x16e
	s_cbranch_scc1 .LBB0_374
.LBB0_1397:
	buffer_load_dword v0, off, s[0:3], 0 offset:1476
	v_mov_b32_e32 v1, 0
	s_waitcnt vmcnt(0)
	global_store_dword v1, v0, s[6:7] offset:1460
	s_cmpk_lt_u32 s11, 0x16f
	s_cbranch_scc1 .LBB0_375
.LBB0_1398:
	buffer_load_dword v0, off, s[0:3], 0 offset:1480
	v_mov_b32_e32 v1, 0
	s_waitcnt vmcnt(0)
	global_store_dword v1, v0, s[6:7] offset:1464
	s_cmpk_lt_u32 s11, 0x170
	s_cbranch_scc1 .LBB0_376
.LBB0_1399:
	buffer_load_dword v0, off, s[0:3], 0 offset:1484
	v_mov_b32_e32 v1, 0
	s_waitcnt vmcnt(0)
	global_store_dword v1, v0, s[6:7] offset:1468
	s_cmpk_lt_u32 s11, 0x171
	s_cbranch_scc1 .LBB0_377
.LBB0_1400:
	buffer_load_dword v0, off, s[0:3], 0 offset:1488
	v_mov_b32_e32 v1, 0
	s_waitcnt vmcnt(0)
	global_store_dword v1, v0, s[6:7] offset:1472
	s_cmpk_lt_u32 s11, 0x172
	s_cbranch_scc1 .LBB0_378
.LBB0_1401:
	buffer_load_dword v0, off, s[0:3], 0 offset:1492
	v_mov_b32_e32 v1, 0
	s_waitcnt vmcnt(0)
	global_store_dword v1, v0, s[6:7] offset:1476
	s_cmpk_lt_u32 s11, 0x173
	s_cbranch_scc1 .LBB0_379
.LBB0_1402:
	buffer_load_dword v0, off, s[0:3], 0 offset:1496
	v_mov_b32_e32 v1, 0
	s_waitcnt vmcnt(0)
	global_store_dword v1, v0, s[6:7] offset:1480
	s_cmpk_lt_u32 s11, 0x174
	s_cbranch_scc1 .LBB0_380
.LBB0_1403:
	buffer_load_dword v0, off, s[0:3], 0 offset:1500
	v_mov_b32_e32 v1, 0
	s_waitcnt vmcnt(0)
	global_store_dword v1, v0, s[6:7] offset:1484
	s_cmpk_lt_u32 s11, 0x175
	s_cbranch_scc1 .LBB0_381
.LBB0_1404:
	buffer_load_dword v0, off, s[0:3], 0 offset:1504
	v_mov_b32_e32 v1, 0
	s_waitcnt vmcnt(0)
	global_store_dword v1, v0, s[6:7] offset:1488
	s_cmpk_lt_u32 s11, 0x176
	s_cbranch_scc1 .LBB0_382
.LBB0_1405:
	buffer_load_dword v0, off, s[0:3], 0 offset:1508
	v_mov_b32_e32 v1, 0
	s_waitcnt vmcnt(0)
	global_store_dword v1, v0, s[6:7] offset:1492
	s_cmpk_lt_u32 s11, 0x177
	s_cbranch_scc1 .LBB0_383
.LBB0_1406:
	buffer_load_dword v0, off, s[0:3], 0 offset:1512
	v_mov_b32_e32 v1, 0
	s_waitcnt vmcnt(0)
	global_store_dword v1, v0, s[6:7] offset:1496
	s_cmpk_lt_u32 s11, 0x178
	s_cbranch_scc1 .LBB0_384
.LBB0_1407:
	buffer_load_dword v0, off, s[0:3], 0 offset:1516
	v_mov_b32_e32 v1, 0
	s_waitcnt vmcnt(0)
	global_store_dword v1, v0, s[6:7] offset:1500
	s_cmpk_lt_u32 s11, 0x179
	s_cbranch_scc1 .LBB0_385
.LBB0_1408:
	buffer_load_dword v0, off, s[0:3], 0 offset:1520
	v_mov_b32_e32 v1, 0
	s_waitcnt vmcnt(0)
	global_store_dword v1, v0, s[6:7] offset:1504
	s_cmpk_lt_u32 s11, 0x17a
	s_cbranch_scc1 .LBB0_386
.LBB0_1409:
	buffer_load_dword v0, off, s[0:3], 0 offset:1524
	v_mov_b32_e32 v1, 0
	s_waitcnt vmcnt(0)
	global_store_dword v1, v0, s[6:7] offset:1508
	s_cmpk_lt_u32 s11, 0x17b
	s_cbranch_scc1 .LBB0_387
.LBB0_1410:
	buffer_load_dword v0, off, s[0:3], 0 offset:1528
	v_mov_b32_e32 v1, 0
	s_waitcnt vmcnt(0)
	global_store_dword v1, v0, s[6:7] offset:1512
	s_cmpk_lt_u32 s11, 0x17c
	s_cbranch_scc1 .LBB0_388
.LBB0_1411:
	buffer_load_dword v0, off, s[0:3], 0 offset:1532
	v_mov_b32_e32 v1, 0
	s_waitcnt vmcnt(0)
	global_store_dword v1, v0, s[6:7] offset:1516
	s_cmpk_lt_u32 s11, 0x17d
	s_cbranch_scc1 .LBB0_389
.LBB0_1412:
	buffer_load_dword v0, off, s[0:3], 0 offset:1536
	v_mov_b32_e32 v1, 0
	s_waitcnt vmcnt(0)
	global_store_dword v1, v0, s[6:7] offset:1520
	s_cmpk_lt_u32 s11, 0x17e
	s_cbranch_scc1 .LBB0_390
.LBB0_1413:
	buffer_load_dword v0, off, s[0:3], 0 offset:1540
	v_mov_b32_e32 v1, 0
	s_waitcnt vmcnt(0)
	global_store_dword v1, v0, s[6:7] offset:1524
	s_cmpk_lt_u32 s11, 0x17f
	s_cbranch_scc1 .LBB0_391
.LBB0_1414:
	buffer_load_dword v0, off, s[0:3], 0 offset:1544
	v_mov_b32_e32 v1, 0
	s_waitcnt vmcnt(0)
	global_store_dword v1, v0, s[6:7] offset:1528
	s_cmpk_lt_u32 s11, 0x180
	s_cbranch_scc1 .LBB0_392
.LBB0_1415:
	buffer_load_dword v0, off, s[0:3], 0 offset:1548
	v_mov_b32_e32 v1, 0
	s_waitcnt vmcnt(0)
	global_store_dword v1, v0, s[6:7] offset:1532
	s_cmpk_lt_u32 s11, 0x181
	s_cbranch_scc1 .LBB0_393
.LBB0_1416:
	buffer_load_dword v0, off, s[0:3], 0 offset:1552
	v_mov_b32_e32 v1, 0
	s_waitcnt vmcnt(0)
	global_store_dword v1, v0, s[6:7] offset:1536
	s_cmpk_lt_u32 s11, 0x182
	s_cbranch_scc1 .LBB0_394
.LBB0_1417:
	buffer_load_dword v0, off, s[0:3], 0 offset:1556
	v_mov_b32_e32 v1, 0
	s_waitcnt vmcnt(0)
	global_store_dword v1, v0, s[6:7] offset:1540
	s_cmpk_lt_u32 s11, 0x183
	s_cbranch_scc1 .LBB0_395
.LBB0_1418:
	buffer_load_dword v0, off, s[0:3], 0 offset:1560
	v_mov_b32_e32 v1, 0
	s_waitcnt vmcnt(0)
	global_store_dword v1, v0, s[6:7] offset:1544
	s_cmpk_lt_u32 s11, 0x184
	s_cbranch_scc1 .LBB0_396
.LBB0_1419:
	buffer_load_dword v0, off, s[0:3], 0 offset:1564
	v_mov_b32_e32 v1, 0
	s_waitcnt vmcnt(0)
	global_store_dword v1, v0, s[6:7] offset:1548
	s_cmpk_lt_u32 s11, 0x185
	s_cbranch_scc1 .LBB0_397
.LBB0_1420:
	buffer_load_dword v0, off, s[0:3], 0 offset:1568
	v_mov_b32_e32 v1, 0
	s_waitcnt vmcnt(0)
	global_store_dword v1, v0, s[6:7] offset:1552
	s_cmpk_lt_u32 s11, 0x186
	s_cbranch_scc1 .LBB0_398
.LBB0_1421:
	buffer_load_dword v0, off, s[0:3], 0 offset:1572
	v_mov_b32_e32 v1, 0
	s_waitcnt vmcnt(0)
	global_store_dword v1, v0, s[6:7] offset:1556
	s_cmpk_lt_u32 s11, 0x187
	s_cbranch_scc1 .LBB0_399
.LBB0_1422:
	buffer_load_dword v0, off, s[0:3], 0 offset:1576
	v_mov_b32_e32 v1, 0
	s_waitcnt vmcnt(0)
	global_store_dword v1, v0, s[6:7] offset:1560
	s_cmpk_lt_u32 s11, 0x188
	s_cbranch_scc1 .LBB0_400
.LBB0_1423:
	buffer_load_dword v0, off, s[0:3], 0 offset:1580
	v_mov_b32_e32 v1, 0
	s_waitcnt vmcnt(0)
	global_store_dword v1, v0, s[6:7] offset:1564
	s_cmpk_lt_u32 s11, 0x189
	s_cbranch_scc1 .LBB0_401
.LBB0_1424:
	buffer_load_dword v0, off, s[0:3], 0 offset:1584
	v_mov_b32_e32 v1, 0
	s_waitcnt vmcnt(0)
	global_store_dword v1, v0, s[6:7] offset:1568
	s_cmpk_lt_u32 s11, 0x18a
	s_cbranch_scc1 .LBB0_402
.LBB0_1425:
	buffer_load_dword v0, off, s[0:3], 0 offset:1588
	v_mov_b32_e32 v1, 0
	s_waitcnt vmcnt(0)
	global_store_dword v1, v0, s[6:7] offset:1572
	s_cmpk_lt_u32 s11, 0x18b
	s_cbranch_scc1 .LBB0_403
.LBB0_1426:
	buffer_load_dword v0, off, s[0:3], 0 offset:1592
	v_mov_b32_e32 v1, 0
	s_waitcnt vmcnt(0)
	global_store_dword v1, v0, s[6:7] offset:1576
	s_cmpk_lt_u32 s11, 0x18c
	s_cbranch_scc1 .LBB0_404
.LBB0_1427:
	buffer_load_dword v0, off, s[0:3], 0 offset:1596
	v_mov_b32_e32 v1, 0
	s_waitcnt vmcnt(0)
	global_store_dword v1, v0, s[6:7] offset:1580
	s_cmpk_lt_u32 s11, 0x18d
	s_cbranch_scc1 .LBB0_405
.LBB0_1428:
	buffer_load_dword v0, off, s[0:3], 0 offset:1600
	v_mov_b32_e32 v1, 0
	s_waitcnt vmcnt(0)
	global_store_dword v1, v0, s[6:7] offset:1584
	s_cmpk_lt_u32 s11, 0x18e
	s_cbranch_scc1 .LBB0_406
.LBB0_1429:
	buffer_load_dword v0, off, s[0:3], 0 offset:1604
	v_mov_b32_e32 v1, 0
	s_waitcnt vmcnt(0)
	global_store_dword v1, v0, s[6:7] offset:1588
	s_cmpk_lt_u32 s11, 0x18f
	s_cbranch_scc1 .LBB0_407
.LBB0_1430:
	buffer_load_dword v0, off, s[0:3], 0 offset:1608
	v_mov_b32_e32 v1, 0
	s_waitcnt vmcnt(0)
	global_store_dword v1, v0, s[6:7] offset:1592
	s_cmpk_lt_u32 s11, 0x190
	s_cbranch_scc1 .LBB0_408
.LBB0_1431:
	buffer_load_dword v0, off, s[0:3], 0 offset:1612
	v_mov_b32_e32 v1, 0
	s_waitcnt vmcnt(0)
	global_store_dword v1, v0, s[6:7] offset:1596
	s_cmpk_lt_u32 s11, 0x191
	s_cbranch_scc1 .LBB0_409
.LBB0_1432:
	buffer_load_dword v0, off, s[0:3], 0 offset:1616
	v_mov_b32_e32 v1, 0
	s_waitcnt vmcnt(0)
	global_store_dword v1, v0, s[6:7] offset:1600
	s_cmpk_lt_u32 s11, 0x192
	s_cbranch_scc1 .LBB0_410
.LBB0_1433:
	buffer_load_dword v0, off, s[0:3], 0 offset:1620
	v_mov_b32_e32 v1, 0
	s_waitcnt vmcnt(0)
	global_store_dword v1, v0, s[6:7] offset:1604
	s_cmpk_lt_u32 s11, 0x193
	s_cbranch_scc1 .LBB0_411
.LBB0_1434:
	buffer_load_dword v0, off, s[0:3], 0 offset:1624
	v_mov_b32_e32 v1, 0
	s_waitcnt vmcnt(0)
	global_store_dword v1, v0, s[6:7] offset:1608
	s_cmpk_lt_u32 s11, 0x194
	s_cbranch_scc1 .LBB0_412
.LBB0_1435:
	buffer_load_dword v0, off, s[0:3], 0 offset:1628
	v_mov_b32_e32 v1, 0
	s_waitcnt vmcnt(0)
	global_store_dword v1, v0, s[6:7] offset:1612
	s_cmpk_lt_u32 s11, 0x195
	s_cbranch_scc1 .LBB0_413
.LBB0_1436:
	buffer_load_dword v0, off, s[0:3], 0 offset:1632
	v_mov_b32_e32 v1, 0
	s_waitcnt vmcnt(0)
	global_store_dword v1, v0, s[6:7] offset:1616
	s_cmpk_lt_u32 s11, 0x196
	s_cbranch_scc1 .LBB0_414
.LBB0_1437:
	buffer_load_dword v0, off, s[0:3], 0 offset:1636
	v_mov_b32_e32 v1, 0
	s_waitcnt vmcnt(0)
	global_store_dword v1, v0, s[6:7] offset:1620
	s_cmpk_lt_u32 s11, 0x197
	s_cbranch_scc1 .LBB0_415
.LBB0_1438:
	buffer_load_dword v0, off, s[0:3], 0 offset:1640
	v_mov_b32_e32 v1, 0
	s_waitcnt vmcnt(0)
	global_store_dword v1, v0, s[6:7] offset:1624
	s_cmpk_lt_u32 s11, 0x198
	s_cbranch_scc1 .LBB0_416
.LBB0_1439:
	buffer_load_dword v0, off, s[0:3], 0 offset:1644
	v_mov_b32_e32 v1, 0
	s_waitcnt vmcnt(0)
	global_store_dword v1, v0, s[6:7] offset:1628
	s_cmpk_lt_u32 s11, 0x199
	s_cbranch_scc1 .LBB0_417
.LBB0_1440:
	buffer_load_dword v0, off, s[0:3], 0 offset:1648
	v_mov_b32_e32 v1, 0
	s_waitcnt vmcnt(0)
	global_store_dword v1, v0, s[6:7] offset:1632
	s_cmpk_lt_u32 s11, 0x19a
	s_cbranch_scc1 .LBB0_418
.LBB0_1441:
	buffer_load_dword v0, off, s[0:3], 0 offset:1652
	v_mov_b32_e32 v1, 0
	s_waitcnt vmcnt(0)
	global_store_dword v1, v0, s[6:7] offset:1636
	s_cmpk_lt_u32 s11, 0x19b
	s_cbranch_scc1 .LBB0_419
.LBB0_1442:
	buffer_load_dword v0, off, s[0:3], 0 offset:1656
	v_mov_b32_e32 v1, 0
	s_waitcnt vmcnt(0)
	global_store_dword v1, v0, s[6:7] offset:1640
	s_cmpk_lt_u32 s11, 0x19c
	s_cbranch_scc1 .LBB0_420
.LBB0_1443:
	buffer_load_dword v0, off, s[0:3], 0 offset:1660
	v_mov_b32_e32 v1, 0
	s_waitcnt vmcnt(0)
	global_store_dword v1, v0, s[6:7] offset:1644
	s_cmpk_lt_u32 s11, 0x19d
	s_cbranch_scc1 .LBB0_421
.LBB0_1444:
	buffer_load_dword v0, off, s[0:3], 0 offset:1664
	v_mov_b32_e32 v1, 0
	s_waitcnt vmcnt(0)
	global_store_dword v1, v0, s[6:7] offset:1648
	s_cmpk_lt_u32 s11, 0x19e
	s_cbranch_scc1 .LBB0_422
.LBB0_1445:
	buffer_load_dword v0, off, s[0:3], 0 offset:1668
	v_mov_b32_e32 v1, 0
	s_waitcnt vmcnt(0)
	global_store_dword v1, v0, s[6:7] offset:1652
	s_cmpk_lt_u32 s11, 0x19f
	s_cbranch_scc1 .LBB0_423
.LBB0_1446:
	buffer_load_dword v0, off, s[0:3], 0 offset:1672
	v_mov_b32_e32 v1, 0
	s_waitcnt vmcnt(0)
	global_store_dword v1, v0, s[6:7] offset:1656
	s_cmpk_lt_u32 s11, 0x1a0
	s_cbranch_scc1 .LBB0_424
.LBB0_1447:
	buffer_load_dword v0, off, s[0:3], 0 offset:1676
	v_mov_b32_e32 v1, 0
	s_waitcnt vmcnt(0)
	global_store_dword v1, v0, s[6:7] offset:1660
	s_cmpk_lt_u32 s11, 0x1a1
	s_cbranch_scc1 .LBB0_425
.LBB0_1448:
	buffer_load_dword v0, off, s[0:3], 0 offset:1680
	v_mov_b32_e32 v1, 0
	s_waitcnt vmcnt(0)
	global_store_dword v1, v0, s[6:7] offset:1664
	s_cmpk_lt_u32 s11, 0x1a2
	s_cbranch_scc1 .LBB0_426
.LBB0_1449:
	buffer_load_dword v0, off, s[0:3], 0 offset:1684
	v_mov_b32_e32 v1, 0
	s_waitcnt vmcnt(0)
	global_store_dword v1, v0, s[6:7] offset:1668
	s_cmpk_lt_u32 s11, 0x1a3
	s_cbranch_scc1 .LBB0_427
.LBB0_1450:
	buffer_load_dword v0, off, s[0:3], 0 offset:1688
	v_mov_b32_e32 v1, 0
	s_waitcnt vmcnt(0)
	global_store_dword v1, v0, s[6:7] offset:1672
	s_cmpk_lt_u32 s11, 0x1a4
	s_cbranch_scc1 .LBB0_428
.LBB0_1451:
	buffer_load_dword v0, off, s[0:3], 0 offset:1692
	v_mov_b32_e32 v1, 0
	s_waitcnt vmcnt(0)
	global_store_dword v1, v0, s[6:7] offset:1676
	s_cmpk_lt_u32 s11, 0x1a5
	s_cbranch_scc1 .LBB0_429
.LBB0_1452:
	buffer_load_dword v0, off, s[0:3], 0 offset:1696
	v_mov_b32_e32 v1, 0
	s_waitcnt vmcnt(0)
	global_store_dword v1, v0, s[6:7] offset:1680
	s_cmpk_lt_u32 s11, 0x1a6
	s_cbranch_scc1 .LBB0_430
.LBB0_1453:
	buffer_load_dword v0, off, s[0:3], 0 offset:1700
	v_mov_b32_e32 v1, 0
	s_waitcnt vmcnt(0)
	global_store_dword v1, v0, s[6:7] offset:1684
	s_cmpk_lt_u32 s11, 0x1a7
	s_cbranch_scc1 .LBB0_431
.LBB0_1454:
	buffer_load_dword v0, off, s[0:3], 0 offset:1704
	v_mov_b32_e32 v1, 0
	s_waitcnt vmcnt(0)
	global_store_dword v1, v0, s[6:7] offset:1688
	s_cmpk_lt_u32 s11, 0x1a8
	s_cbranch_scc1 .LBB0_432
.LBB0_1455:
	buffer_load_dword v0, off, s[0:3], 0 offset:1708
	v_mov_b32_e32 v1, 0
	s_waitcnt vmcnt(0)
	global_store_dword v1, v0, s[6:7] offset:1692
	s_cmpk_lt_u32 s11, 0x1a9
	s_cbranch_scc1 .LBB0_433
.LBB0_1456:
	buffer_load_dword v0, off, s[0:3], 0 offset:1712
	v_mov_b32_e32 v1, 0
	s_waitcnt vmcnt(0)
	global_store_dword v1, v0, s[6:7] offset:1696
	s_cmpk_lt_u32 s11, 0x1aa
	s_cbranch_scc1 .LBB0_434
.LBB0_1457:
	buffer_load_dword v0, off, s[0:3], 0 offset:1716
	v_mov_b32_e32 v1, 0
	s_waitcnt vmcnt(0)
	global_store_dword v1, v0, s[6:7] offset:1700
	s_cmpk_lt_u32 s11, 0x1ab
	s_cbranch_scc1 .LBB0_435
.LBB0_1458:
	buffer_load_dword v0, off, s[0:3], 0 offset:1720
	v_mov_b32_e32 v1, 0
	s_waitcnt vmcnt(0)
	global_store_dword v1, v0, s[6:7] offset:1704
	s_cmpk_lt_u32 s11, 0x1ac
	s_cbranch_scc1 .LBB0_436
.LBB0_1459:
	buffer_load_dword v0, off, s[0:3], 0 offset:1724
	v_mov_b32_e32 v1, 0
	s_waitcnt vmcnt(0)
	global_store_dword v1, v0, s[6:7] offset:1708
	s_cmpk_lt_u32 s11, 0x1ad
	s_cbranch_scc1 .LBB0_437
.LBB0_1460:
	buffer_load_dword v0, off, s[0:3], 0 offset:1728
	v_mov_b32_e32 v1, 0
	s_waitcnt vmcnt(0)
	global_store_dword v1, v0, s[6:7] offset:1712
	s_cmpk_lt_u32 s11, 0x1ae
	s_cbranch_scc1 .LBB0_438
.LBB0_1461:
	buffer_load_dword v0, off, s[0:3], 0 offset:1732
	v_mov_b32_e32 v1, 0
	s_waitcnt vmcnt(0)
	global_store_dword v1, v0, s[6:7] offset:1716
	s_cmpk_lt_u32 s11, 0x1af
	s_cbranch_scc1 .LBB0_439
.LBB0_1462:
	buffer_load_dword v0, off, s[0:3], 0 offset:1736
	v_mov_b32_e32 v1, 0
	s_waitcnt vmcnt(0)
	global_store_dword v1, v0, s[6:7] offset:1720
	s_cmpk_lt_u32 s11, 0x1b0
	s_cbranch_scc1 .LBB0_440
.LBB0_1463:
	buffer_load_dword v0, off, s[0:3], 0 offset:1740
	v_mov_b32_e32 v1, 0
	s_waitcnt vmcnt(0)
	global_store_dword v1, v0, s[6:7] offset:1724
	s_cmpk_lt_u32 s11, 0x1b1
	s_cbranch_scc1 .LBB0_441
.LBB0_1464:
	buffer_load_dword v0, off, s[0:3], 0 offset:1744
	v_mov_b32_e32 v1, 0
	s_waitcnt vmcnt(0)
	global_store_dword v1, v0, s[6:7] offset:1728
	s_cmpk_lt_u32 s11, 0x1b2
	s_cbranch_scc1 .LBB0_442
.LBB0_1465:
	buffer_load_dword v0, off, s[0:3], 0 offset:1748
	v_mov_b32_e32 v1, 0
	s_waitcnt vmcnt(0)
	global_store_dword v1, v0, s[6:7] offset:1732
	s_cmpk_lt_u32 s11, 0x1b3
	s_cbranch_scc1 .LBB0_443
.LBB0_1466:
	buffer_load_dword v0, off, s[0:3], 0 offset:1752
	v_mov_b32_e32 v1, 0
	s_waitcnt vmcnt(0)
	global_store_dword v1, v0, s[6:7] offset:1736
	s_cmpk_lt_u32 s11, 0x1b4
	s_cbranch_scc1 .LBB0_444
.LBB0_1467:
	buffer_load_dword v0, off, s[0:3], 0 offset:1756
	v_mov_b32_e32 v1, 0
	s_waitcnt vmcnt(0)
	global_store_dword v1, v0, s[6:7] offset:1740
	s_cmpk_lt_u32 s11, 0x1b5
	s_cbranch_scc1 .LBB0_445
.LBB0_1468:
	buffer_load_dword v0, off, s[0:3], 0 offset:1760
	v_mov_b32_e32 v1, 0
	s_waitcnt vmcnt(0)
	global_store_dword v1, v0, s[6:7] offset:1744
	s_cmpk_lt_u32 s11, 0x1b6
	s_cbranch_scc1 .LBB0_446
.LBB0_1469:
	buffer_load_dword v0, off, s[0:3], 0 offset:1764
	v_mov_b32_e32 v1, 0
	s_waitcnt vmcnt(0)
	global_store_dword v1, v0, s[6:7] offset:1748
	s_cmpk_lt_u32 s11, 0x1b7
	s_cbranch_scc1 .LBB0_447
.LBB0_1470:
	buffer_load_dword v0, off, s[0:3], 0 offset:1768
	v_mov_b32_e32 v1, 0
	s_waitcnt vmcnt(0)
	global_store_dword v1, v0, s[6:7] offset:1752
	s_cmpk_lt_u32 s11, 0x1b8
	s_cbranch_scc1 .LBB0_448
.LBB0_1471:
	buffer_load_dword v0, off, s[0:3], 0 offset:1772
	v_mov_b32_e32 v1, 0
	s_waitcnt vmcnt(0)
	global_store_dword v1, v0, s[6:7] offset:1756
	s_cmpk_lt_u32 s11, 0x1b9
	s_cbranch_scc1 .LBB0_449
.LBB0_1472:
	buffer_load_dword v0, off, s[0:3], 0 offset:1776
	v_mov_b32_e32 v1, 0
	s_waitcnt vmcnt(0)
	global_store_dword v1, v0, s[6:7] offset:1760
	s_cmpk_lt_u32 s11, 0x1ba
	s_cbranch_scc1 .LBB0_450
.LBB0_1473:
	buffer_load_dword v0, off, s[0:3], 0 offset:1780
	v_mov_b32_e32 v1, 0
	s_waitcnt vmcnt(0)
	global_store_dword v1, v0, s[6:7] offset:1764
	s_cmpk_lt_u32 s11, 0x1bb
	s_cbranch_scc1 .LBB0_451
.LBB0_1474:
	buffer_load_dword v0, off, s[0:3], 0 offset:1784
	v_mov_b32_e32 v1, 0
	s_waitcnt vmcnt(0)
	global_store_dword v1, v0, s[6:7] offset:1768
	s_cmpk_lt_u32 s11, 0x1bc
	s_cbranch_scc1 .LBB0_452
.LBB0_1475:
	buffer_load_dword v0, off, s[0:3], 0 offset:1788
	v_mov_b32_e32 v1, 0
	s_waitcnt vmcnt(0)
	global_store_dword v1, v0, s[6:7] offset:1772
	s_cmpk_lt_u32 s11, 0x1bd
	s_cbranch_scc1 .LBB0_453
.LBB0_1476:
	buffer_load_dword v0, off, s[0:3], 0 offset:1792
	v_mov_b32_e32 v1, 0
	s_waitcnt vmcnt(0)
	global_store_dword v1, v0, s[6:7] offset:1776
	s_cmpk_lt_u32 s11, 0x1be
	s_cbranch_scc1 .LBB0_454
.LBB0_1477:
	buffer_load_dword v0, off, s[0:3], 0 offset:1796
	v_mov_b32_e32 v1, 0
	s_waitcnt vmcnt(0)
	global_store_dword v1, v0, s[6:7] offset:1780
	s_cmpk_lt_u32 s11, 0x1bf
	s_cbranch_scc1 .LBB0_455
.LBB0_1478:
	buffer_load_dword v0, off, s[0:3], 0 offset:1800
	v_mov_b32_e32 v1, 0
	s_waitcnt vmcnt(0)
	global_store_dword v1, v0, s[6:7] offset:1784
	s_cmpk_lt_u32 s11, 0x1c0
	s_cbranch_scc1 .LBB0_456
.LBB0_1479:
	buffer_load_dword v0, off, s[0:3], 0 offset:1804
	v_mov_b32_e32 v1, 0
	s_waitcnt vmcnt(0)
	global_store_dword v1, v0, s[6:7] offset:1788
	s_cmpk_lt_u32 s11, 0x1c1
	s_cbranch_scc1 .LBB0_457
.LBB0_1480:
	buffer_load_dword v0, off, s[0:3], 0 offset:1808
	v_mov_b32_e32 v1, 0
	s_waitcnt vmcnt(0)
	global_store_dword v1, v0, s[6:7] offset:1792
	s_cmpk_lt_u32 s11, 0x1c2
	s_cbranch_scc1 .LBB0_458
.LBB0_1481:
	buffer_load_dword v0, off, s[0:3], 0 offset:1812
	v_mov_b32_e32 v1, 0
	s_waitcnt vmcnt(0)
	global_store_dword v1, v0, s[6:7] offset:1796
	s_cmpk_lt_u32 s11, 0x1c3
	s_cbranch_scc1 .LBB0_459
.LBB0_1482:
	buffer_load_dword v0, off, s[0:3], 0 offset:1816
	v_mov_b32_e32 v1, 0
	s_waitcnt vmcnt(0)
	global_store_dword v1, v0, s[6:7] offset:1800
	s_cmpk_lt_u32 s11, 0x1c4
	s_cbranch_scc1 .LBB0_460
.LBB0_1483:
	buffer_load_dword v0, off, s[0:3], 0 offset:1820
	v_mov_b32_e32 v1, 0
	s_waitcnt vmcnt(0)
	global_store_dword v1, v0, s[6:7] offset:1804
	s_cmpk_lt_u32 s11, 0x1c5
	s_cbranch_scc1 .LBB0_461
.LBB0_1484:
	buffer_load_dword v0, off, s[0:3], 0 offset:1824
	v_mov_b32_e32 v1, 0
	s_waitcnt vmcnt(0)
	global_store_dword v1, v0, s[6:7] offset:1808
	s_cmpk_lt_u32 s11, 0x1c6
	s_cbranch_scc1 .LBB0_462
.LBB0_1485:
	buffer_load_dword v0, off, s[0:3], 0 offset:1828
	v_mov_b32_e32 v1, 0
	s_waitcnt vmcnt(0)
	global_store_dword v1, v0, s[6:7] offset:1812
	s_cmpk_lt_u32 s11, 0x1c7
	s_cbranch_scc1 .LBB0_463
.LBB0_1486:
	buffer_load_dword v0, off, s[0:3], 0 offset:1832
	v_mov_b32_e32 v1, 0
	s_waitcnt vmcnt(0)
	global_store_dword v1, v0, s[6:7] offset:1816
	s_cmpk_lt_u32 s11, 0x1c8
	s_cbranch_scc1 .LBB0_464
.LBB0_1487:
	buffer_load_dword v0, off, s[0:3], 0 offset:1836
	v_mov_b32_e32 v1, 0
	s_waitcnt vmcnt(0)
	global_store_dword v1, v0, s[6:7] offset:1820
	s_cmpk_lt_u32 s11, 0x1c9
	s_cbranch_scc1 .LBB0_465
.LBB0_1488:
	buffer_load_dword v0, off, s[0:3], 0 offset:1840
	v_mov_b32_e32 v1, 0
	s_waitcnt vmcnt(0)
	global_store_dword v1, v0, s[6:7] offset:1824
	s_cmpk_lt_u32 s11, 0x1ca
	s_cbranch_scc1 .LBB0_466
.LBB0_1489:
	buffer_load_dword v0, off, s[0:3], 0 offset:1844
	v_mov_b32_e32 v1, 0
	s_waitcnt vmcnt(0)
	global_store_dword v1, v0, s[6:7] offset:1828
	s_cmpk_lt_u32 s11, 0x1cb
	s_cbranch_scc1 .LBB0_467
.LBB0_1490:
	buffer_load_dword v0, off, s[0:3], 0 offset:1848
	v_mov_b32_e32 v1, 0
	s_waitcnt vmcnt(0)
	global_store_dword v1, v0, s[6:7] offset:1832
	s_cmpk_lt_u32 s11, 0x1cc
	s_cbranch_scc1 .LBB0_468
.LBB0_1491:
	buffer_load_dword v0, off, s[0:3], 0 offset:1852
	v_mov_b32_e32 v1, 0
	s_waitcnt vmcnt(0)
	global_store_dword v1, v0, s[6:7] offset:1836
	s_cmpk_lt_u32 s11, 0x1cd
	s_cbranch_scc1 .LBB0_469
.LBB0_1492:
	buffer_load_dword v0, off, s[0:3], 0 offset:1856
	v_mov_b32_e32 v1, 0
	s_waitcnt vmcnt(0)
	global_store_dword v1, v0, s[6:7] offset:1840
	s_cmpk_lt_u32 s11, 0x1ce
	s_cbranch_scc1 .LBB0_470
.LBB0_1493:
	buffer_load_dword v0, off, s[0:3], 0 offset:1860
	v_mov_b32_e32 v1, 0
	s_waitcnt vmcnt(0)
	global_store_dword v1, v0, s[6:7] offset:1844
	s_cmpk_lt_u32 s11, 0x1cf
	s_cbranch_scc1 .LBB0_471
.LBB0_1494:
	buffer_load_dword v0, off, s[0:3], 0 offset:1864
	v_mov_b32_e32 v1, 0
	s_waitcnt vmcnt(0)
	global_store_dword v1, v0, s[6:7] offset:1848
	s_cmpk_lt_u32 s11, 0x1d0
	s_cbranch_scc1 .LBB0_472
.LBB0_1495:
	buffer_load_dword v0, off, s[0:3], 0 offset:1868
	v_mov_b32_e32 v1, 0
	s_waitcnt vmcnt(0)
	global_store_dword v1, v0, s[6:7] offset:1852
	s_cmpk_lt_u32 s11, 0x1d1
	s_cbranch_scc1 .LBB0_473
.LBB0_1496:
	buffer_load_dword v0, off, s[0:3], 0 offset:1872
	v_mov_b32_e32 v1, 0
	s_waitcnt vmcnt(0)
	global_store_dword v1, v0, s[6:7] offset:1856
	s_cmpk_lt_u32 s11, 0x1d2
	s_cbranch_scc1 .LBB0_474
.LBB0_1497:
	buffer_load_dword v0, off, s[0:3], 0 offset:1876
	v_mov_b32_e32 v1, 0
	s_waitcnt vmcnt(0)
	global_store_dword v1, v0, s[6:7] offset:1860
	s_cmpk_lt_u32 s11, 0x1d3
	s_cbranch_scc1 .LBB0_475
.LBB0_1498:
	buffer_load_dword v0, off, s[0:3], 0 offset:1880
	v_mov_b32_e32 v1, 0
	s_waitcnt vmcnt(0)
	global_store_dword v1, v0, s[6:7] offset:1864
	s_cmpk_lt_u32 s11, 0x1d4
	s_cbranch_scc1 .LBB0_476
.LBB0_1499:
	buffer_load_dword v0, off, s[0:3], 0 offset:1884
	v_mov_b32_e32 v1, 0
	s_waitcnt vmcnt(0)
	global_store_dword v1, v0, s[6:7] offset:1868
	s_cmpk_lt_u32 s11, 0x1d5
	s_cbranch_scc1 .LBB0_477
.LBB0_1500:
	buffer_load_dword v0, off, s[0:3], 0 offset:1888
	v_mov_b32_e32 v1, 0
	s_waitcnt vmcnt(0)
	global_store_dword v1, v0, s[6:7] offset:1872
	s_cmpk_lt_u32 s11, 0x1d6
	s_cbranch_scc1 .LBB0_478
.LBB0_1501:
	buffer_load_dword v0, off, s[0:3], 0 offset:1892
	v_mov_b32_e32 v1, 0
	s_waitcnt vmcnt(0)
	global_store_dword v1, v0, s[6:7] offset:1876
	s_cmpk_lt_u32 s11, 0x1d7
	s_cbranch_scc1 .LBB0_479
.LBB0_1502:
	buffer_load_dword v0, off, s[0:3], 0 offset:1896
	v_mov_b32_e32 v1, 0
	s_waitcnt vmcnt(0)
	global_store_dword v1, v0, s[6:7] offset:1880
	s_cmpk_lt_u32 s11, 0x1d8
	s_cbranch_scc1 .LBB0_480
.LBB0_1503:
	buffer_load_dword v0, off, s[0:3], 0 offset:1900
	v_mov_b32_e32 v1, 0
	s_waitcnt vmcnt(0)
	global_store_dword v1, v0, s[6:7] offset:1884
	s_cmpk_lt_u32 s11, 0x1d9
	s_cbranch_scc1 .LBB0_481
.LBB0_1504:
	buffer_load_dword v0, off, s[0:3], 0 offset:1904
	v_mov_b32_e32 v1, 0
	s_waitcnt vmcnt(0)
	global_store_dword v1, v0, s[6:7] offset:1888
	s_cmpk_lt_u32 s11, 0x1da
	s_cbranch_scc1 .LBB0_482
.LBB0_1505:
	buffer_load_dword v0, off, s[0:3], 0 offset:1908
	v_mov_b32_e32 v1, 0
	s_waitcnt vmcnt(0)
	global_store_dword v1, v0, s[6:7] offset:1892
	s_cmpk_lt_u32 s11, 0x1db
	s_cbranch_scc1 .LBB0_483
.LBB0_1506:
	buffer_load_dword v0, off, s[0:3], 0 offset:1912
	v_mov_b32_e32 v1, 0
	s_waitcnt vmcnt(0)
	global_store_dword v1, v0, s[6:7] offset:1896
	s_cmpk_lt_u32 s11, 0x1dc
	s_cbranch_scc1 .LBB0_484
.LBB0_1507:
	buffer_load_dword v0, off, s[0:3], 0 offset:1916
	v_mov_b32_e32 v1, 0
	s_waitcnt vmcnt(0)
	global_store_dword v1, v0, s[6:7] offset:1900
	s_cmpk_lt_u32 s11, 0x1dd
	s_cbranch_scc1 .LBB0_485
.LBB0_1508:
	buffer_load_dword v0, off, s[0:3], 0 offset:1920
	v_mov_b32_e32 v1, 0
	s_waitcnt vmcnt(0)
	global_store_dword v1, v0, s[6:7] offset:1904
	s_cmpk_lt_u32 s11, 0x1de
	s_cbranch_scc1 .LBB0_486
.LBB0_1509:
	buffer_load_dword v0, off, s[0:3], 0 offset:1924
	v_mov_b32_e32 v1, 0
	s_waitcnt vmcnt(0)
	global_store_dword v1, v0, s[6:7] offset:1908
	s_cmpk_lt_u32 s11, 0x1df
	s_cbranch_scc1 .LBB0_487
.LBB0_1510:
	buffer_load_dword v0, off, s[0:3], 0 offset:1928
	v_mov_b32_e32 v1, 0
	s_waitcnt vmcnt(0)
	global_store_dword v1, v0, s[6:7] offset:1912
	s_cmpk_lt_u32 s11, 0x1e0
	s_cbranch_scc1 .LBB0_488
.LBB0_1511:
	buffer_load_dword v0, off, s[0:3], 0 offset:1932
	v_mov_b32_e32 v1, 0
	s_waitcnt vmcnt(0)
	global_store_dword v1, v0, s[6:7] offset:1916
	s_cmpk_lt_u32 s11, 0x1e1
	s_cbranch_scc1 .LBB0_489
.LBB0_1512:
	buffer_load_dword v0, off, s[0:3], 0 offset:1936
	v_mov_b32_e32 v1, 0
	s_waitcnt vmcnt(0)
	global_store_dword v1, v0, s[6:7] offset:1920
	s_cmpk_lt_u32 s11, 0x1e2
	s_cbranch_scc1 .LBB0_490
.LBB0_1513:
	buffer_load_dword v0, off, s[0:3], 0 offset:1940
	v_mov_b32_e32 v1, 0
	s_waitcnt vmcnt(0)
	global_store_dword v1, v0, s[6:7] offset:1924
	s_cmpk_lt_u32 s11, 0x1e3
	s_cbranch_scc1 .LBB0_491
.LBB0_1514:
	buffer_load_dword v0, off, s[0:3], 0 offset:1944
	v_mov_b32_e32 v1, 0
	s_waitcnt vmcnt(0)
	global_store_dword v1, v0, s[6:7] offset:1928
	s_cmpk_lt_u32 s11, 0x1e4
	s_cbranch_scc1 .LBB0_492
.LBB0_1515:
	buffer_load_dword v0, off, s[0:3], 0 offset:1948
	v_mov_b32_e32 v1, 0
	s_waitcnt vmcnt(0)
	global_store_dword v1, v0, s[6:7] offset:1932
	s_cmpk_lt_u32 s11, 0x1e5
	s_cbranch_scc1 .LBB0_493
.LBB0_1516:
	buffer_load_dword v0, off, s[0:3], 0 offset:1952
	v_mov_b32_e32 v1, 0
	s_waitcnt vmcnt(0)
	global_store_dword v1, v0, s[6:7] offset:1936
	s_cmpk_lt_u32 s11, 0x1e6
	s_cbranch_scc1 .LBB0_494
.LBB0_1517:
	buffer_load_dword v0, off, s[0:3], 0 offset:1956
	v_mov_b32_e32 v1, 0
	s_waitcnt vmcnt(0)
	global_store_dword v1, v0, s[6:7] offset:1940
	s_cmpk_lt_u32 s11, 0x1e7
	s_cbranch_scc1 .LBB0_495
.LBB0_1518:
	buffer_load_dword v0, off, s[0:3], 0 offset:1960
	v_mov_b32_e32 v1, 0
	s_waitcnt vmcnt(0)
	global_store_dword v1, v0, s[6:7] offset:1944
	s_cmpk_lt_u32 s11, 0x1e8
	s_cbranch_scc1 .LBB0_496
.LBB0_1519:
	buffer_load_dword v0, off, s[0:3], 0 offset:1964
	v_mov_b32_e32 v1, 0
	s_waitcnt vmcnt(0)
	global_store_dword v1, v0, s[6:7] offset:1948
	s_cmpk_lt_u32 s11, 0x1e9
	s_cbranch_scc1 .LBB0_497
.LBB0_1520:
	buffer_load_dword v0, off, s[0:3], 0 offset:1968
	v_mov_b32_e32 v1, 0
	s_waitcnt vmcnt(0)
	global_store_dword v1, v0, s[6:7] offset:1952
	s_cmpk_lt_u32 s11, 0x1ea
	s_cbranch_scc1 .LBB0_498
.LBB0_1521:
	buffer_load_dword v0, off, s[0:3], 0 offset:1972
	v_mov_b32_e32 v1, 0
	s_waitcnt vmcnt(0)
	global_store_dword v1, v0, s[6:7] offset:1956
	s_cmpk_lt_u32 s11, 0x1eb
	s_cbranch_scc1 .LBB0_499
.LBB0_1522:
	buffer_load_dword v0, off, s[0:3], 0 offset:1976
	v_mov_b32_e32 v1, 0
	s_waitcnt vmcnt(0)
	global_store_dword v1, v0, s[6:7] offset:1960
	s_cmpk_lt_u32 s11, 0x1ec
	s_cbranch_scc1 .LBB0_500
.LBB0_1523:
	buffer_load_dword v0, off, s[0:3], 0 offset:1980
	v_mov_b32_e32 v1, 0
	s_waitcnt vmcnt(0)
	global_store_dword v1, v0, s[6:7] offset:1964
	s_cmpk_lt_u32 s11, 0x1ed
	s_cbranch_scc1 .LBB0_501
.LBB0_1524:
	buffer_load_dword v0, off, s[0:3], 0 offset:1984
	v_mov_b32_e32 v1, 0
	s_waitcnt vmcnt(0)
	global_store_dword v1, v0, s[6:7] offset:1968
	s_cmpk_lt_u32 s11, 0x1ee
	s_cbranch_scc1 .LBB0_502
.LBB0_1525:
	buffer_load_dword v0, off, s[0:3], 0 offset:1988
	v_mov_b32_e32 v1, 0
	s_waitcnt vmcnt(0)
	global_store_dword v1, v0, s[6:7] offset:1972
	s_cmpk_lt_u32 s11, 0x1ef
	s_cbranch_scc1 .LBB0_503
.LBB0_1526:
	buffer_load_dword v0, off, s[0:3], 0 offset:1992
	v_mov_b32_e32 v1, 0
	s_waitcnt vmcnt(0)
	global_store_dword v1, v0, s[6:7] offset:1976
	s_cmpk_lt_u32 s11, 0x1f0
	s_cbranch_scc1 .LBB0_504
.LBB0_1527:
	buffer_load_dword v0, off, s[0:3], 0 offset:1996
	v_mov_b32_e32 v1, 0
	s_waitcnt vmcnt(0)
	global_store_dword v1, v0, s[6:7] offset:1980
	s_cmpk_lt_u32 s11, 0x1f1
	s_cbranch_scc1 .LBB0_505
.LBB0_1528:
	buffer_load_dword v0, off, s[0:3], 0 offset:2000
	v_mov_b32_e32 v1, 0
	s_waitcnt vmcnt(0)
	global_store_dword v1, v0, s[6:7] offset:1984
	s_cmpk_lt_u32 s11, 0x1f2
	s_cbranch_scc1 .LBB0_506
.LBB0_1529:
	buffer_load_dword v0, off, s[0:3], 0 offset:2004
	v_mov_b32_e32 v1, 0
	s_waitcnt vmcnt(0)
	global_store_dword v1, v0, s[6:7] offset:1988
	s_cmpk_lt_u32 s11, 0x1f3
	s_cbranch_scc1 .LBB0_507
.LBB0_1530:
	buffer_load_dword v0, off, s[0:3], 0 offset:2008
	v_mov_b32_e32 v1, 0
	s_waitcnt vmcnt(0)
	global_store_dword v1, v0, s[6:7] offset:1992
	s_cmpk_lt_u32 s11, 0x1f4
	s_cbranch_scc1 .LBB0_508
.LBB0_1531:
	buffer_load_dword v0, off, s[0:3], 0 offset:2012
	v_mov_b32_e32 v1, 0
	s_waitcnt vmcnt(0)
	global_store_dword v1, v0, s[6:7] offset:1996
	s_cmpk_lt_u32 s11, 0x1f5
	s_cbranch_scc1 .LBB0_509
.LBB0_1532:
	buffer_load_dword v0, off, s[0:3], 0 offset:2016
	v_mov_b32_e32 v1, 0
	s_waitcnt vmcnt(0)
	global_store_dword v1, v0, s[6:7] offset:2000
	s_cmpk_lt_u32 s11, 0x1f6
	s_cbranch_scc1 .LBB0_510
.LBB0_1533:
	buffer_load_dword v0, off, s[0:3], 0 offset:2020
	v_mov_b32_e32 v1, 0
	s_waitcnt vmcnt(0)
	global_store_dword v1, v0, s[6:7] offset:2004
	s_cmpk_lt_u32 s11, 0x1f7
	s_cbranch_scc1 .LBB0_511
.LBB0_1534:
	buffer_load_dword v0, off, s[0:3], 0 offset:2024
	v_mov_b32_e32 v1, 0
	s_waitcnt vmcnt(0)
	global_store_dword v1, v0, s[6:7] offset:2008
	s_cmpk_lt_u32 s11, 0x1f8
	s_cbranch_scc1 .LBB0_512
.LBB0_1535:
	buffer_load_dword v0, off, s[0:3], 0 offset:2028
	v_mov_b32_e32 v1, 0
	s_waitcnt vmcnt(0)
	global_store_dword v1, v0, s[6:7] offset:2012
	s_cmpk_lt_u32 s11, 0x1f9
	s_cbranch_scc1 .LBB0_513
.LBB0_1536:
	buffer_load_dword v0, off, s[0:3], 0 offset:2032
	v_mov_b32_e32 v1, 0
	s_waitcnt vmcnt(0)
	global_store_dword v1, v0, s[6:7] offset:2016
	s_cmpk_lt_u32 s11, 0x1fa
	s_cbranch_scc1 .LBB0_514
.LBB0_1537:
	buffer_load_dword v0, off, s[0:3], 0 offset:2036
	v_mov_b32_e32 v1, 0
	s_waitcnt vmcnt(0)
	global_store_dword v1, v0, s[6:7] offset:2020
	s_cmpk_lt_u32 s11, 0x1fb
	s_cbranch_scc1 .LBB0_515
.LBB0_1538:
	buffer_load_dword v0, off, s[0:3], 0 offset:2040
	v_mov_b32_e32 v1, 0
	s_waitcnt vmcnt(0)
	global_store_dword v1, v0, s[6:7] offset:2024
	s_cmpk_lt_u32 s11, 0x1fc
	s_cbranch_scc1 .LBB0_516
.LBB0_1539:
	buffer_load_dword v0, off, s[0:3], 0 offset:2044
	v_mov_b32_e32 v1, 0
	s_waitcnt vmcnt(0)
	global_store_dword v1, v0, s[6:7] offset:2028
	s_cmpk_lt_u32 s11, 0x1fd
	s_cbranch_scc1 .LBB0_517
.LBB0_1540:
	buffer_load_dword v0, off, s[0:3], 0 offset:2048
	v_mov_b32_e32 v1, 0
	s_waitcnt vmcnt(0)
	global_store_dword v1, v0, s[6:7] offset:2032
	s_cmpk_lt_u32 s11, 0x1fe
	s_cbranch_scc1 .LBB0_518
.LBB0_1541:
	buffer_load_dword v0, off, s[0:3], 0 offset:2052
	v_mov_b32_e32 v1, 0
	s_waitcnt vmcnt(0)
	global_store_dword v1, v0, s[6:7] offset:2036
	s_cmpk_lt_u32 s11, 0x1ff
	s_cbranch_scc1 .LBB0_519
.LBB0_1542:
	buffer_load_dword v0, off, s[0:3], 0 offset:2056
	v_mov_b32_e32 v1, 0
	s_waitcnt vmcnt(0)
	global_store_dword v1, v0, s[6:7] offset:2040
	s_cmpk_lt_u32 s11, 0x200
	s_cbranch_scc1 .LBB0_520
.LBB0_1543:
	buffer_load_dword v0, off, s[0:3], 0 offset:2060
	v_mov_b32_e32 v1, 0
	s_waitcnt vmcnt(0)
	global_store_dword v1, v0, s[6:7] offset:2044
	s_cmpk_lt_u32 s11, 0x201
	s_cbranch_scc1 .LBB0_521
.LBB0_1544:
	buffer_load_dword v0, off, s[0:3], 0 offset:2064
	v_mov_b32_e32 v1, 0
	s_waitcnt vmcnt(0)
	global_store_dword v1, v0, s[6:7] offset:2048
	s_cmpk_lt_u32 s11, 0x202
	s_cbranch_scc1 .LBB0_522
.LBB0_1545:
	buffer_load_dword v0, off, s[0:3], 0 offset:2068
	v_mov_b32_e32 v1, 0
	s_waitcnt vmcnt(0)
	global_store_dword v1, v0, s[6:7] offset:2052
	s_cmpk_lt_u32 s11, 0x203
	s_cbranch_scc1 .LBB0_523
.LBB0_1546:
	buffer_load_dword v0, off, s[0:3], 0 offset:2072
	v_mov_b32_e32 v1, 0
	s_waitcnt vmcnt(0)
	global_store_dword v1, v0, s[6:7] offset:2056
	s_cmpk_lt_u32 s11, 0x204
	s_cbranch_scc1 .LBB0_524
.LBB0_1547:
	buffer_load_dword v0, off, s[0:3], 0 offset:2076
	v_mov_b32_e32 v1, 0
	s_waitcnt vmcnt(0)
	global_store_dword v1, v0, s[6:7] offset:2060
	s_cmpk_lt_u32 s11, 0x205
	s_cbranch_scc1 .LBB0_525
.LBB0_1548:
	buffer_load_dword v0, off, s[0:3], 0 offset:2080
	v_mov_b32_e32 v1, 0
	s_waitcnt vmcnt(0)
	global_store_dword v1, v0, s[6:7] offset:2064
	s_cmpk_lt_u32 s11, 0x206
	s_cbranch_scc1 .LBB0_526
.LBB0_1549:
	buffer_load_dword v0, off, s[0:3], 0 offset:2084
	v_mov_b32_e32 v1, 0
	s_waitcnt vmcnt(0)
	global_store_dword v1, v0, s[6:7] offset:2068
	s_cmpk_lt_u32 s11, 0x207
	s_cbranch_scc1 .LBB0_527
.LBB0_1550:
	buffer_load_dword v0, off, s[0:3], 0 offset:2088
	v_mov_b32_e32 v1, 0
	s_waitcnt vmcnt(0)
	global_store_dword v1, v0, s[6:7] offset:2072
	s_cmpk_lt_u32 s11, 0x208
	s_cbranch_scc1 .LBB0_528
.LBB0_1551:
	buffer_load_dword v0, off, s[0:3], 0 offset:2092
	v_mov_b32_e32 v1, 0
	s_waitcnt vmcnt(0)
	global_store_dword v1, v0, s[6:7] offset:2076
	s_cmpk_lt_u32 s11, 0x209
	s_cbranch_scc1 .LBB0_529
.LBB0_1552:
	buffer_load_dword v0, off, s[0:3], 0 offset:2096
	v_mov_b32_e32 v1, 0
	s_waitcnt vmcnt(0)
	global_store_dword v1, v0, s[6:7] offset:2080
	s_cmpk_lt_u32 s11, 0x20a
	s_cbranch_scc1 .LBB0_530
.LBB0_1553:
	buffer_load_dword v0, off, s[0:3], 0 offset:2100
	v_mov_b32_e32 v1, 0
	s_waitcnt vmcnt(0)
	global_store_dword v1, v0, s[6:7] offset:2084
	s_cmpk_lt_u32 s11, 0x20b
	s_cbranch_scc1 .LBB0_531
.LBB0_1554:
	buffer_load_dword v0, off, s[0:3], 0 offset:2104
	v_mov_b32_e32 v1, 0
	s_waitcnt vmcnt(0)
	global_store_dword v1, v0, s[6:7] offset:2088
	s_cmpk_lt_u32 s11, 0x20c
	s_cbranch_scc1 .LBB0_532
.LBB0_1555:
	buffer_load_dword v0, off, s[0:3], 0 offset:2108
	v_mov_b32_e32 v1, 0
	s_waitcnt vmcnt(0)
	global_store_dword v1, v0, s[6:7] offset:2092
	s_cmpk_lt_u32 s11, 0x20d
	s_cbranch_scc1 .LBB0_533
.LBB0_1556:
	buffer_load_dword v0, off, s[0:3], 0 offset:2112
	v_mov_b32_e32 v1, 0
	s_waitcnt vmcnt(0)
	global_store_dword v1, v0, s[6:7] offset:2096
	s_cmpk_lt_u32 s11, 0x20e
	s_cbranch_scc1 .LBB0_534
.LBB0_1557:
	buffer_load_dword v0, off, s[0:3], 0 offset:2116
	v_mov_b32_e32 v1, 0
	s_waitcnt vmcnt(0)
	global_store_dword v1, v0, s[6:7] offset:2100
	s_cmpk_lt_u32 s11, 0x20f
	s_cbranch_scc1 .LBB0_535
.LBB0_1558:
	buffer_load_dword v0, off, s[0:3], 0 offset:2120
	v_mov_b32_e32 v1, 0
	s_waitcnt vmcnt(0)
	global_store_dword v1, v0, s[6:7] offset:2104
	s_cmpk_lt_u32 s11, 0x210
	s_cbranch_scc1 .LBB0_536
.LBB0_1559:
	buffer_load_dword v0, off, s[0:3], 0 offset:2124
	v_mov_b32_e32 v1, 0
	s_waitcnt vmcnt(0)
	global_store_dword v1, v0, s[6:7] offset:2108
	s_cmpk_lt_u32 s11, 0x211
	s_cbranch_scc1 .LBB0_537
.LBB0_1560:
	buffer_load_dword v0, off, s[0:3], 0 offset:2128
	v_mov_b32_e32 v1, 0
	s_waitcnt vmcnt(0)
	global_store_dword v1, v0, s[6:7] offset:2112
	s_cmpk_lt_u32 s11, 0x212
	s_cbranch_scc1 .LBB0_538
.LBB0_1561:
	buffer_load_dword v0, off, s[0:3], 0 offset:2132
	v_mov_b32_e32 v1, 0
	s_waitcnt vmcnt(0)
	global_store_dword v1, v0, s[6:7] offset:2116
	s_cmpk_lt_u32 s11, 0x213
	s_cbranch_scc1 .LBB0_539
.LBB0_1562:
	buffer_load_dword v0, off, s[0:3], 0 offset:2136
	v_mov_b32_e32 v1, 0
	s_waitcnt vmcnt(0)
	global_store_dword v1, v0, s[6:7] offset:2120
	s_cmpk_lt_u32 s11, 0x214
	s_cbranch_scc1 .LBB0_540
.LBB0_1563:
	buffer_load_dword v0, off, s[0:3], 0 offset:2140
	v_mov_b32_e32 v1, 0
	s_waitcnt vmcnt(0)
	global_store_dword v1, v0, s[6:7] offset:2124
	s_cmpk_lt_u32 s11, 0x215
	s_cbranch_scc1 .LBB0_541
.LBB0_1564:
	buffer_load_dword v0, off, s[0:3], 0 offset:2144
	v_mov_b32_e32 v1, 0
	s_waitcnt vmcnt(0)
	global_store_dword v1, v0, s[6:7] offset:2128
	s_cmpk_lt_u32 s11, 0x216
	s_cbranch_scc1 .LBB0_542
.LBB0_1565:
	buffer_load_dword v0, off, s[0:3], 0 offset:2148
	v_mov_b32_e32 v1, 0
	s_waitcnt vmcnt(0)
	global_store_dword v1, v0, s[6:7] offset:2132
	s_cmpk_lt_u32 s11, 0x217
	s_cbranch_scc1 .LBB0_543
.LBB0_1566:
	buffer_load_dword v0, off, s[0:3], 0 offset:2152
	v_mov_b32_e32 v1, 0
	s_waitcnt vmcnt(0)
	global_store_dword v1, v0, s[6:7] offset:2136
	s_cmpk_lt_u32 s11, 0x218
	s_cbranch_scc1 .LBB0_544
.LBB0_1567:
	buffer_load_dword v0, off, s[0:3], 0 offset:2156
	v_mov_b32_e32 v1, 0
	s_waitcnt vmcnt(0)
	global_store_dword v1, v0, s[6:7] offset:2140
	s_cmpk_lt_u32 s11, 0x219
	s_cbranch_scc1 .LBB0_545
.LBB0_1568:
	buffer_load_dword v0, off, s[0:3], 0 offset:2160
	v_mov_b32_e32 v1, 0
	s_waitcnt vmcnt(0)
	global_store_dword v1, v0, s[6:7] offset:2144
	s_cmpk_lt_u32 s11, 0x21a
	s_cbranch_scc1 .LBB0_546
.LBB0_1569:
	buffer_load_dword v0, off, s[0:3], 0 offset:2164
	v_mov_b32_e32 v1, 0
	s_waitcnt vmcnt(0)
	global_store_dword v1, v0, s[6:7] offset:2148
	s_cmpk_lt_u32 s11, 0x21b
	s_cbranch_scc1 .LBB0_547
.LBB0_1570:
	buffer_load_dword v0, off, s[0:3], 0 offset:2168
	v_mov_b32_e32 v1, 0
	s_waitcnt vmcnt(0)
	global_store_dword v1, v0, s[6:7] offset:2152
	s_cmpk_lt_u32 s11, 0x21c
	s_cbranch_scc1 .LBB0_548
.LBB0_1571:
	buffer_load_dword v0, off, s[0:3], 0 offset:2172
	v_mov_b32_e32 v1, 0
	s_waitcnt vmcnt(0)
	global_store_dword v1, v0, s[6:7] offset:2156
	s_cmpk_lt_u32 s11, 0x21d
	s_cbranch_scc1 .LBB0_549
.LBB0_1572:
	buffer_load_dword v0, off, s[0:3], 0 offset:2176
	v_mov_b32_e32 v1, 0
	s_waitcnt vmcnt(0)
	global_store_dword v1, v0, s[6:7] offset:2160
	s_cmpk_lt_u32 s11, 0x21e
	s_cbranch_scc1 .LBB0_550
.LBB0_1573:
	buffer_load_dword v0, off, s[0:3], 0 offset:2180
	v_mov_b32_e32 v1, 0
	s_waitcnt vmcnt(0)
	global_store_dword v1, v0, s[6:7] offset:2164
	s_cmpk_lt_u32 s11, 0x21f
	s_cbranch_scc1 .LBB0_551
.LBB0_1574:
	buffer_load_dword v0, off, s[0:3], 0 offset:2184
	v_mov_b32_e32 v1, 0
	s_waitcnt vmcnt(0)
	global_store_dword v1, v0, s[6:7] offset:2168
	s_cmpk_lt_u32 s11, 0x220
	s_cbranch_scc1 .LBB0_552
.LBB0_1575:
	buffer_load_dword v0, off, s[0:3], 0 offset:2188
	v_mov_b32_e32 v1, 0
	s_waitcnt vmcnt(0)
	global_store_dword v1, v0, s[6:7] offset:2172
	s_cmpk_lt_u32 s11, 0x221
	s_cbranch_scc1 .LBB0_553
.LBB0_1576:
	buffer_load_dword v0, off, s[0:3], 0 offset:2192
	v_mov_b32_e32 v1, 0
	s_waitcnt vmcnt(0)
	global_store_dword v1, v0, s[6:7] offset:2176
	s_cmpk_lt_u32 s11, 0x222
	s_cbranch_scc1 .LBB0_554
.LBB0_1577:
	buffer_load_dword v0, off, s[0:3], 0 offset:2196
	v_mov_b32_e32 v1, 0
	s_waitcnt vmcnt(0)
	global_store_dword v1, v0, s[6:7] offset:2180
	s_cmpk_lt_u32 s11, 0x223
	s_cbranch_scc1 .LBB0_555
.LBB0_1578:
	buffer_load_dword v0, off, s[0:3], 0 offset:2200
	v_mov_b32_e32 v1, 0
	s_waitcnt vmcnt(0)
	global_store_dword v1, v0, s[6:7] offset:2184
	s_cmpk_lt_u32 s11, 0x224
	s_cbranch_scc1 .LBB0_556
.LBB0_1579:
	buffer_load_dword v0, off, s[0:3], 0 offset:2204
	v_mov_b32_e32 v1, 0
	s_waitcnt vmcnt(0)
	global_store_dword v1, v0, s[6:7] offset:2188
	s_cmpk_lt_u32 s11, 0x225
	s_cbranch_scc1 .LBB0_557
.LBB0_1580:
	buffer_load_dword v0, off, s[0:3], 0 offset:2208
	v_mov_b32_e32 v1, 0
	s_waitcnt vmcnt(0)
	global_store_dword v1, v0, s[6:7] offset:2192
	s_cmpk_lt_u32 s11, 0x226
	s_cbranch_scc1 .LBB0_558
.LBB0_1581:
	buffer_load_dword v0, off, s[0:3], 0 offset:2212
	v_mov_b32_e32 v1, 0
	s_waitcnt vmcnt(0)
	global_store_dword v1, v0, s[6:7] offset:2196
	s_cmpk_lt_u32 s11, 0x227
	s_cbranch_scc1 .LBB0_559
.LBB0_1582:
	buffer_load_dword v0, off, s[0:3], 0 offset:2216
	v_mov_b32_e32 v1, 0
	s_waitcnt vmcnt(0)
	global_store_dword v1, v0, s[6:7] offset:2200
	s_cmpk_lt_u32 s11, 0x228
	s_cbranch_scc1 .LBB0_560
.LBB0_1583:
	buffer_load_dword v0, off, s[0:3], 0 offset:2220
	v_mov_b32_e32 v1, 0
	s_waitcnt vmcnt(0)
	global_store_dword v1, v0, s[6:7] offset:2204
	s_cmpk_lt_u32 s11, 0x229
	s_cbranch_scc1 .LBB0_561
.LBB0_1584:
	buffer_load_dword v0, off, s[0:3], 0 offset:2224
	v_mov_b32_e32 v1, 0
	s_waitcnt vmcnt(0)
	global_store_dword v1, v0, s[6:7] offset:2208
	s_cmpk_lt_u32 s11, 0x22a
	s_cbranch_scc1 .LBB0_562
.LBB0_1585:
	buffer_load_dword v0, off, s[0:3], 0 offset:2228
	v_mov_b32_e32 v1, 0
	s_waitcnt vmcnt(0)
	global_store_dword v1, v0, s[6:7] offset:2212
	s_cmpk_lt_u32 s11, 0x22b
	s_cbranch_scc1 .LBB0_563
.LBB0_1586:
	buffer_load_dword v0, off, s[0:3], 0 offset:2232
	v_mov_b32_e32 v1, 0
	s_waitcnt vmcnt(0)
	global_store_dword v1, v0, s[6:7] offset:2216
	s_cmpk_lt_u32 s11, 0x22c
	s_cbranch_scc1 .LBB0_564
.LBB0_1587:
	buffer_load_dword v0, off, s[0:3], 0 offset:2236
	v_mov_b32_e32 v1, 0
	s_waitcnt vmcnt(0)
	global_store_dword v1, v0, s[6:7] offset:2220
	s_cmpk_lt_u32 s11, 0x22d
	s_cbranch_scc1 .LBB0_565
.LBB0_1588:
	buffer_load_dword v0, off, s[0:3], 0 offset:2240
	v_mov_b32_e32 v1, 0
	s_waitcnt vmcnt(0)
	global_store_dword v1, v0, s[6:7] offset:2224
	s_cmpk_lt_u32 s11, 0x22e
	s_cbranch_scc1 .LBB0_566
.LBB0_1589:
	buffer_load_dword v0, off, s[0:3], 0 offset:2244
	v_mov_b32_e32 v1, 0
	s_waitcnt vmcnt(0)
	global_store_dword v1, v0, s[6:7] offset:2228
	s_cmpk_lt_u32 s11, 0x22f
	s_cbranch_scc1 .LBB0_567
.LBB0_1590:
	buffer_load_dword v0, off, s[0:3], 0 offset:2248
	v_mov_b32_e32 v1, 0
	s_waitcnt vmcnt(0)
	global_store_dword v1, v0, s[6:7] offset:2232
	s_cmpk_lt_u32 s11, 0x230
	s_cbranch_scc1 .LBB0_568
.LBB0_1591:
	buffer_load_dword v0, off, s[0:3], 0 offset:2252
	v_mov_b32_e32 v1, 0
	s_waitcnt vmcnt(0)
	global_store_dword v1, v0, s[6:7] offset:2236
	s_cmpk_lt_u32 s11, 0x231
	s_cbranch_scc1 .LBB0_569
.LBB0_1592:
	buffer_load_dword v0, off, s[0:3], 0 offset:2256
	v_mov_b32_e32 v1, 0
	s_waitcnt vmcnt(0)
	global_store_dword v1, v0, s[6:7] offset:2240
	s_cmpk_lt_u32 s11, 0x232
	s_cbranch_scc1 .LBB0_570
.LBB0_1593:
	buffer_load_dword v0, off, s[0:3], 0 offset:2260
	v_mov_b32_e32 v1, 0
	s_waitcnt vmcnt(0)
	global_store_dword v1, v0, s[6:7] offset:2244
	s_cmpk_lt_u32 s11, 0x233
	s_cbranch_scc1 .LBB0_571
.LBB0_1594:
	buffer_load_dword v0, off, s[0:3], 0 offset:2264
	v_mov_b32_e32 v1, 0
	s_waitcnt vmcnt(0)
	global_store_dword v1, v0, s[6:7] offset:2248
	s_cmpk_lt_u32 s11, 0x234
	s_cbranch_scc1 .LBB0_572
.LBB0_1595:
	buffer_load_dword v0, off, s[0:3], 0 offset:2268
	v_mov_b32_e32 v1, 0
	s_waitcnt vmcnt(0)
	global_store_dword v1, v0, s[6:7] offset:2252
	s_cmpk_lt_u32 s11, 0x235
	s_cbranch_scc1 .LBB0_573
.LBB0_1596:
	buffer_load_dword v0, off, s[0:3], 0 offset:2272
	v_mov_b32_e32 v1, 0
	s_waitcnt vmcnt(0)
	global_store_dword v1, v0, s[6:7] offset:2256
	s_cmpk_lt_u32 s11, 0x236
	s_cbranch_scc1 .LBB0_574
.LBB0_1597:
	buffer_load_dword v0, off, s[0:3], 0 offset:2276
	v_mov_b32_e32 v1, 0
	s_waitcnt vmcnt(0)
	global_store_dword v1, v0, s[6:7] offset:2260
	s_cmpk_lt_u32 s11, 0x237
	s_cbranch_scc1 .LBB0_575
.LBB0_1598:
	buffer_load_dword v0, off, s[0:3], 0 offset:2280
	v_mov_b32_e32 v1, 0
	s_waitcnt vmcnt(0)
	global_store_dword v1, v0, s[6:7] offset:2264
	s_cmpk_lt_u32 s11, 0x238
	s_cbranch_scc1 .LBB0_576
.LBB0_1599:
	buffer_load_dword v0, off, s[0:3], 0 offset:2284
	v_mov_b32_e32 v1, 0
	s_waitcnt vmcnt(0)
	global_store_dword v1, v0, s[6:7] offset:2268
	s_cmpk_lt_u32 s11, 0x239
	s_cbranch_scc1 .LBB0_577
.LBB0_1600:
	buffer_load_dword v0, off, s[0:3], 0 offset:2288
	v_mov_b32_e32 v1, 0
	s_waitcnt vmcnt(0)
	global_store_dword v1, v0, s[6:7] offset:2272
	s_cmpk_lt_u32 s11, 0x23a
	s_cbranch_scc1 .LBB0_578
.LBB0_1601:
	buffer_load_dword v0, off, s[0:3], 0 offset:2292
	v_mov_b32_e32 v1, 0
	s_waitcnt vmcnt(0)
	global_store_dword v1, v0, s[6:7] offset:2276
	s_cmpk_lt_u32 s11, 0x23b
	s_cbranch_scc1 .LBB0_579
.LBB0_1602:
	buffer_load_dword v0, off, s[0:3], 0 offset:2296
	v_mov_b32_e32 v1, 0
	s_waitcnt vmcnt(0)
	global_store_dword v1, v0, s[6:7] offset:2280
	s_cmpk_lt_u32 s11, 0x23c
	s_cbranch_scc1 .LBB0_580
.LBB0_1603:
	buffer_load_dword v0, off, s[0:3], 0 offset:2300
	v_mov_b32_e32 v1, 0
	s_waitcnt vmcnt(0)
	global_store_dword v1, v0, s[6:7] offset:2284
	s_cmpk_lt_u32 s11, 0x23d
	s_cbranch_scc1 .LBB0_581
.LBB0_1604:
	buffer_load_dword v0, off, s[0:3], 0 offset:2304
	v_mov_b32_e32 v1, 0
	s_waitcnt vmcnt(0)
	global_store_dword v1, v0, s[6:7] offset:2288
	s_cmpk_lt_u32 s11, 0x23e
	s_cbranch_scc1 .LBB0_582
.LBB0_1605:
	buffer_load_dword v0, off, s[0:3], 0 offset:2308
	v_mov_b32_e32 v1, 0
	s_waitcnt vmcnt(0)
	global_store_dword v1, v0, s[6:7] offset:2292
	s_cmpk_lt_u32 s11, 0x23f
	s_cbranch_scc1 .LBB0_583
.LBB0_1606:
	buffer_load_dword v0, off, s[0:3], 0 offset:2312
	v_mov_b32_e32 v1, 0
	s_waitcnt vmcnt(0)
	global_store_dword v1, v0, s[6:7] offset:2296
	s_cmpk_lt_u32 s11, 0x240
	s_cbranch_scc1 .LBB0_584
.LBB0_1607:
	buffer_load_dword v0, off, s[0:3], 0 offset:2316
	v_mov_b32_e32 v1, 0
	s_waitcnt vmcnt(0)
	global_store_dword v1, v0, s[6:7] offset:2300
	s_cmpk_lt_u32 s11, 0x241
	s_cbranch_scc1 .LBB0_585
.LBB0_1608:
	buffer_load_dword v0, off, s[0:3], 0 offset:2320
	v_mov_b32_e32 v1, 0
	s_waitcnt vmcnt(0)
	global_store_dword v1, v0, s[6:7] offset:2304
	s_cmpk_lt_u32 s11, 0x242
	s_cbranch_scc1 .LBB0_586
.LBB0_1609:
	buffer_load_dword v0, off, s[0:3], 0 offset:2324
	v_mov_b32_e32 v1, 0
	s_waitcnt vmcnt(0)
	global_store_dword v1, v0, s[6:7] offset:2308
	s_cmpk_lt_u32 s11, 0x243
	s_cbranch_scc1 .LBB0_587
.LBB0_1610:
	buffer_load_dword v0, off, s[0:3], 0 offset:2328
	v_mov_b32_e32 v1, 0
	s_waitcnt vmcnt(0)
	global_store_dword v1, v0, s[6:7] offset:2312
	s_cmpk_lt_u32 s11, 0x244
	s_cbranch_scc1 .LBB0_588
.LBB0_1611:
	buffer_load_dword v0, off, s[0:3], 0 offset:2332
	v_mov_b32_e32 v1, 0
	s_waitcnt vmcnt(0)
	global_store_dword v1, v0, s[6:7] offset:2316
	s_cmpk_lt_u32 s11, 0x245
	s_cbranch_scc1 .LBB0_589
.LBB0_1612:
	buffer_load_dword v0, off, s[0:3], 0 offset:2336
	v_mov_b32_e32 v1, 0
	s_waitcnt vmcnt(0)
	global_store_dword v1, v0, s[6:7] offset:2320
	s_cmpk_lt_u32 s11, 0x246
	s_cbranch_scc1 .LBB0_590
.LBB0_1613:
	buffer_load_dword v0, off, s[0:3], 0 offset:2340
	v_mov_b32_e32 v1, 0
	s_waitcnt vmcnt(0)
	global_store_dword v1, v0, s[6:7] offset:2324
	s_cmpk_lt_u32 s11, 0x247
	s_cbranch_scc1 .LBB0_591
.LBB0_1614:
	buffer_load_dword v0, off, s[0:3], 0 offset:2344
	v_mov_b32_e32 v1, 0
	s_waitcnt vmcnt(0)
	global_store_dword v1, v0, s[6:7] offset:2328
	s_cmpk_lt_u32 s11, 0x248
	s_cbranch_scc1 .LBB0_592
.LBB0_1615:
	buffer_load_dword v0, off, s[0:3], 0 offset:2348
	v_mov_b32_e32 v1, 0
	s_waitcnt vmcnt(0)
	global_store_dword v1, v0, s[6:7] offset:2332
	s_cmpk_lt_u32 s11, 0x249
	s_cbranch_scc1 .LBB0_593
.LBB0_1616:
	buffer_load_dword v0, off, s[0:3], 0 offset:2352
	v_mov_b32_e32 v1, 0
	s_waitcnt vmcnt(0)
	global_store_dword v1, v0, s[6:7] offset:2336
	s_cmpk_lt_u32 s11, 0x24a
	s_cbranch_scc1 .LBB0_594
.LBB0_1617:
	buffer_load_dword v0, off, s[0:3], 0 offset:2356
	v_mov_b32_e32 v1, 0
	s_waitcnt vmcnt(0)
	global_store_dword v1, v0, s[6:7] offset:2340
	s_cmpk_lt_u32 s11, 0x24b
	s_cbranch_scc1 .LBB0_595
.LBB0_1618:
	buffer_load_dword v0, off, s[0:3], 0 offset:2360
	v_mov_b32_e32 v1, 0
	s_waitcnt vmcnt(0)
	global_store_dword v1, v0, s[6:7] offset:2344
	s_cmpk_lt_u32 s11, 0x24c
	s_cbranch_scc1 .LBB0_596
.LBB0_1619:
	buffer_load_dword v0, off, s[0:3], 0 offset:2364
	v_mov_b32_e32 v1, 0
	s_waitcnt vmcnt(0)
	global_store_dword v1, v0, s[6:7] offset:2348
	s_cmpk_lt_u32 s11, 0x24d
	s_cbranch_scc1 .LBB0_597
.LBB0_1620:
	buffer_load_dword v0, off, s[0:3], 0 offset:2368
	v_mov_b32_e32 v1, 0
	s_waitcnt vmcnt(0)
	global_store_dword v1, v0, s[6:7] offset:2352
	s_cmpk_lt_u32 s11, 0x24e
	s_cbranch_scc1 .LBB0_598
.LBB0_1621:
	buffer_load_dword v0, off, s[0:3], 0 offset:2372
	v_mov_b32_e32 v1, 0
	s_waitcnt vmcnt(0)
	global_store_dword v1, v0, s[6:7] offset:2356
	s_cmpk_lt_u32 s11, 0x24f
	s_cbranch_scc1 .LBB0_599
.LBB0_1622:
	buffer_load_dword v0, off, s[0:3], 0 offset:2376
	v_mov_b32_e32 v1, 0
	s_waitcnt vmcnt(0)
	global_store_dword v1, v0, s[6:7] offset:2360
	s_cmpk_lt_u32 s11, 0x250
	s_cbranch_scc1 .LBB0_600
.LBB0_1623:
	buffer_load_dword v0, off, s[0:3], 0 offset:2380
	v_mov_b32_e32 v1, 0
	s_waitcnt vmcnt(0)
	global_store_dword v1, v0, s[6:7] offset:2364
	s_cmpk_lt_u32 s11, 0x251
	s_cbranch_scc1 .LBB0_601
.LBB0_1624:
	buffer_load_dword v0, off, s[0:3], 0 offset:2384
	v_mov_b32_e32 v1, 0
	s_waitcnt vmcnt(0)
	global_store_dword v1, v0, s[6:7] offset:2368
	s_cmpk_lt_u32 s11, 0x252
	s_cbranch_scc1 .LBB0_602
.LBB0_1625:
	buffer_load_dword v0, off, s[0:3], 0 offset:2388
	v_mov_b32_e32 v1, 0
	s_waitcnt vmcnt(0)
	global_store_dword v1, v0, s[6:7] offset:2372
	s_cmpk_lt_u32 s11, 0x253
	s_cbranch_scc1 .LBB0_603
.LBB0_1626:
	buffer_load_dword v0, off, s[0:3], 0 offset:2392
	v_mov_b32_e32 v1, 0
	s_waitcnt vmcnt(0)
	global_store_dword v1, v0, s[6:7] offset:2376
	s_cmpk_lt_u32 s11, 0x254
	s_cbranch_scc1 .LBB0_604
.LBB0_1627:
	buffer_load_dword v0, off, s[0:3], 0 offset:2396
	v_mov_b32_e32 v1, 0
	s_waitcnt vmcnt(0)
	global_store_dword v1, v0, s[6:7] offset:2380
	s_cmpk_lt_u32 s11, 0x255
	s_cbranch_scc1 .LBB0_605
.LBB0_1628:
	buffer_load_dword v0, off, s[0:3], 0 offset:2400
	v_mov_b32_e32 v1, 0
	s_waitcnt vmcnt(0)
	global_store_dword v1, v0, s[6:7] offset:2384
	s_cmpk_lt_u32 s11, 0x256
	s_cbranch_scc1 .LBB0_606
.LBB0_1629:
	buffer_load_dword v0, off, s[0:3], 0 offset:2404
	v_mov_b32_e32 v1, 0
	s_waitcnt vmcnt(0)
	global_store_dword v1, v0, s[6:7] offset:2388
	s_cmpk_lt_u32 s11, 0x257
	s_cbranch_scc1 .LBB0_607
.LBB0_1630:
	buffer_load_dword v0, off, s[0:3], 0 offset:2408
	v_mov_b32_e32 v1, 0
	s_waitcnt vmcnt(0)
	global_store_dword v1, v0, s[6:7] offset:2392
	s_cmpk_lt_u32 s11, 0x258
	s_cbranch_scc1 .LBB0_608
.LBB0_1631:
	buffer_load_dword v0, off, s[0:3], 0 offset:2412
	v_mov_b32_e32 v1, 0
	s_waitcnt vmcnt(0)
	global_store_dword v1, v0, s[6:7] offset:2396
	s_cmpk_lt_u32 s11, 0x259
	s_cbranch_scc1 .LBB0_609
.LBB0_1632:
	buffer_load_dword v0, off, s[0:3], 0 offset:2416
	v_mov_b32_e32 v1, 0
	s_waitcnt vmcnt(0)
	global_store_dword v1, v0, s[6:7] offset:2400
	s_cmpk_lt_u32 s11, 0x25a
	s_cbranch_scc1 .LBB0_610
.LBB0_1633:
	buffer_load_dword v0, off, s[0:3], 0 offset:2420
	v_mov_b32_e32 v1, 0
	s_waitcnt vmcnt(0)
	global_store_dword v1, v0, s[6:7] offset:2404
	s_cmpk_lt_u32 s11, 0x25b
	s_cbranch_scc1 .LBB0_611
.LBB0_1634:
	buffer_load_dword v0, off, s[0:3], 0 offset:2424
	v_mov_b32_e32 v1, 0
	s_waitcnt vmcnt(0)
	global_store_dword v1, v0, s[6:7] offset:2408
	s_cmpk_lt_u32 s11, 0x25c
	s_cbranch_scc1 .LBB0_612
.LBB0_1635:
	buffer_load_dword v0, off, s[0:3], 0 offset:2428
	v_mov_b32_e32 v1, 0
	s_waitcnt vmcnt(0)
	global_store_dword v1, v0, s[6:7] offset:2412
	s_cmpk_lt_u32 s11, 0x25d
	s_cbranch_scc1 .LBB0_613
.LBB0_1636:
	buffer_load_dword v0, off, s[0:3], 0 offset:2432
	v_mov_b32_e32 v1, 0
	s_waitcnt vmcnt(0)
	global_store_dword v1, v0, s[6:7] offset:2416
	s_cmpk_lt_u32 s11, 0x25e
	s_cbranch_scc1 .LBB0_614
.LBB0_1637:
	buffer_load_dword v0, off, s[0:3], 0 offset:2436
	v_mov_b32_e32 v1, 0
	s_waitcnt vmcnt(0)
	global_store_dword v1, v0, s[6:7] offset:2420
	s_cmpk_lt_u32 s11, 0x25f
	s_cbranch_scc1 .LBB0_615
.LBB0_1638:
	buffer_load_dword v0, off, s[0:3], 0 offset:2440
	v_mov_b32_e32 v1, 0
	s_waitcnt vmcnt(0)
	global_store_dword v1, v0, s[6:7] offset:2424
	s_cmpk_lt_u32 s11, 0x260
	s_cbranch_scc1 .LBB0_616
.LBB0_1639:
	buffer_load_dword v0, off, s[0:3], 0 offset:2444
	v_mov_b32_e32 v1, 0
	s_waitcnt vmcnt(0)
	global_store_dword v1, v0, s[6:7] offset:2428
	s_cmpk_lt_u32 s11, 0x261
	s_cbranch_scc1 .LBB0_617
.LBB0_1640:
	buffer_load_dword v0, off, s[0:3], 0 offset:2448
	v_mov_b32_e32 v1, 0
	s_waitcnt vmcnt(0)
	global_store_dword v1, v0, s[6:7] offset:2432
	s_cmpk_lt_u32 s11, 0x262
	s_cbranch_scc1 .LBB0_618
.LBB0_1641:
	buffer_load_dword v0, off, s[0:3], 0 offset:2452
	v_mov_b32_e32 v1, 0
	s_waitcnt vmcnt(0)
	global_store_dword v1, v0, s[6:7] offset:2436
	s_cmpk_lt_u32 s11, 0x263
	s_cbranch_scc1 .LBB0_619
.LBB0_1642:
	buffer_load_dword v0, off, s[0:3], 0 offset:2456
	v_mov_b32_e32 v1, 0
	s_waitcnt vmcnt(0)
	global_store_dword v1, v0, s[6:7] offset:2440
	s_cmpk_lt_u32 s11, 0x264
	s_cbranch_scc1 .LBB0_620
.LBB0_1643:
	buffer_load_dword v0, off, s[0:3], 0 offset:2460
	v_mov_b32_e32 v1, 0
	s_waitcnt vmcnt(0)
	global_store_dword v1, v0, s[6:7] offset:2444
	s_cmpk_lt_u32 s11, 0x265
	s_cbranch_scc1 .LBB0_621
.LBB0_1644:
	buffer_load_dword v0, off, s[0:3], 0 offset:2464
	v_mov_b32_e32 v1, 0
	s_waitcnt vmcnt(0)
	global_store_dword v1, v0, s[6:7] offset:2448
	s_cmpk_lt_u32 s11, 0x266
	s_cbranch_scc1 .LBB0_622
.LBB0_1645:
	buffer_load_dword v0, off, s[0:3], 0 offset:2468
	v_mov_b32_e32 v1, 0
	s_waitcnt vmcnt(0)
	global_store_dword v1, v0, s[6:7] offset:2452
	s_cmpk_lt_u32 s11, 0x267
	s_cbranch_scc1 .LBB0_623
.LBB0_1646:
	buffer_load_dword v0, off, s[0:3], 0 offset:2472
	v_mov_b32_e32 v1, 0
	s_waitcnt vmcnt(0)
	global_store_dword v1, v0, s[6:7] offset:2456
	s_cmpk_lt_u32 s11, 0x268
	s_cbranch_scc1 .LBB0_624
.LBB0_1647:
	buffer_load_dword v0, off, s[0:3], 0 offset:2476
	v_mov_b32_e32 v1, 0
	s_waitcnt vmcnt(0)
	global_store_dword v1, v0, s[6:7] offset:2460
	s_cmpk_lt_u32 s11, 0x269
	s_cbranch_scc1 .LBB0_625
.LBB0_1648:
	buffer_load_dword v0, off, s[0:3], 0 offset:2480
	v_mov_b32_e32 v1, 0
	s_waitcnt vmcnt(0)
	global_store_dword v1, v0, s[6:7] offset:2464
	s_cmpk_lt_u32 s11, 0x26a
	s_cbranch_scc1 .LBB0_626
.LBB0_1649:
	buffer_load_dword v0, off, s[0:3], 0 offset:2484
	v_mov_b32_e32 v1, 0
	s_waitcnt vmcnt(0)
	global_store_dword v1, v0, s[6:7] offset:2468
	s_cmpk_lt_u32 s11, 0x26b
	s_cbranch_scc1 .LBB0_627
.LBB0_1650:
	buffer_load_dword v0, off, s[0:3], 0 offset:2488
	v_mov_b32_e32 v1, 0
	s_waitcnt vmcnt(0)
	global_store_dword v1, v0, s[6:7] offset:2472
	s_cmpk_lt_u32 s11, 0x26c
	s_cbranch_scc1 .LBB0_628
.LBB0_1651:
	buffer_load_dword v0, off, s[0:3], 0 offset:2492
	v_mov_b32_e32 v1, 0
	s_waitcnt vmcnt(0)
	global_store_dword v1, v0, s[6:7] offset:2476
	s_cmpk_lt_u32 s11, 0x26d
	s_cbranch_scc1 .LBB0_629
.LBB0_1652:
	buffer_load_dword v0, off, s[0:3], 0 offset:2496
	v_mov_b32_e32 v1, 0
	s_waitcnt vmcnt(0)
	global_store_dword v1, v0, s[6:7] offset:2480
	s_cmpk_lt_u32 s11, 0x26e
	s_cbranch_scc1 .LBB0_630
.LBB0_1653:
	buffer_load_dword v0, off, s[0:3], 0 offset:2500
	v_mov_b32_e32 v1, 0
	s_waitcnt vmcnt(0)
	global_store_dword v1, v0, s[6:7] offset:2484
	s_cmpk_lt_u32 s11, 0x26f
	s_cbranch_scc1 .LBB0_631
.LBB0_1654:
	buffer_load_dword v0, off, s[0:3], 0 offset:2504
	v_mov_b32_e32 v1, 0
	s_waitcnt vmcnt(0)
	global_store_dword v1, v0, s[6:7] offset:2488
	s_cmpk_lt_u32 s11, 0x270
	s_cbranch_scc1 .LBB0_632
.LBB0_1655:
	buffer_load_dword v0, off, s[0:3], 0 offset:2508
	v_mov_b32_e32 v1, 0
	s_waitcnt vmcnt(0)
	global_store_dword v1, v0, s[6:7] offset:2492
	s_cmpk_lt_u32 s11, 0x271
	s_cbranch_scc1 .LBB0_633
.LBB0_1656:
	buffer_load_dword v0, off, s[0:3], 0 offset:2512
	v_mov_b32_e32 v1, 0
	s_waitcnt vmcnt(0)
	global_store_dword v1, v0, s[6:7] offset:2496
	s_cmpk_lt_u32 s11, 0x272
	s_cbranch_scc1 .LBB0_634
.LBB0_1657:
	buffer_load_dword v0, off, s[0:3], 0 offset:2516
	v_mov_b32_e32 v1, 0
	s_waitcnt vmcnt(0)
	global_store_dword v1, v0, s[6:7] offset:2500
	s_cmpk_lt_u32 s11, 0x273
	s_cbranch_scc1 .LBB0_635
.LBB0_1658:
	buffer_load_dword v0, off, s[0:3], 0 offset:2520
	v_mov_b32_e32 v1, 0
	s_waitcnt vmcnt(0)
	global_store_dword v1, v0, s[6:7] offset:2504
	s_cmpk_lt_u32 s11, 0x274
	s_cbranch_scc1 .LBB0_636
.LBB0_1659:
	buffer_load_dword v0, off, s[0:3], 0 offset:2524
	v_mov_b32_e32 v1, 0
	s_waitcnt vmcnt(0)
	global_store_dword v1, v0, s[6:7] offset:2508
	s_cmpk_lt_u32 s11, 0x275
	s_cbranch_scc1 .LBB0_637
.LBB0_1660:
	buffer_load_dword v0, off, s[0:3], 0 offset:2528
	v_mov_b32_e32 v1, 0
	s_waitcnt vmcnt(0)
	global_store_dword v1, v0, s[6:7] offset:2512
	s_cmpk_lt_u32 s11, 0x276
	s_cbranch_scc1 .LBB0_638
.LBB0_1661:
	buffer_load_dword v0, off, s[0:3], 0 offset:2532
	v_mov_b32_e32 v1, 0
	s_waitcnt vmcnt(0)
	global_store_dword v1, v0, s[6:7] offset:2516
	s_cmpk_lt_u32 s11, 0x277
	s_cbranch_scc1 .LBB0_639
.LBB0_1662:
	buffer_load_dword v0, off, s[0:3], 0 offset:2536
	v_mov_b32_e32 v1, 0
	s_waitcnt vmcnt(0)
	global_store_dword v1, v0, s[6:7] offset:2520
	s_cmpk_lt_u32 s11, 0x278
	s_cbranch_scc1 .LBB0_640
.LBB0_1663:
	buffer_load_dword v0, off, s[0:3], 0 offset:2540
	v_mov_b32_e32 v1, 0
	s_waitcnt vmcnt(0)
	global_store_dword v1, v0, s[6:7] offset:2524
	s_cmpk_lt_u32 s11, 0x279
	s_cbranch_scc1 .LBB0_641
.LBB0_1664:
	buffer_load_dword v0, off, s[0:3], 0 offset:2544
	v_mov_b32_e32 v1, 0
	s_waitcnt vmcnt(0)
	global_store_dword v1, v0, s[6:7] offset:2528
	s_cmpk_lt_u32 s11, 0x27a
	s_cbranch_scc1 .LBB0_642
.LBB0_1665:
	buffer_load_dword v0, off, s[0:3], 0 offset:2548
	v_mov_b32_e32 v1, 0
	s_waitcnt vmcnt(0)
	global_store_dword v1, v0, s[6:7] offset:2532
	s_cmpk_lt_u32 s11, 0x27b
	s_cbranch_scc1 .LBB0_643
.LBB0_1666:
	buffer_load_dword v0, off, s[0:3], 0 offset:2552
	v_mov_b32_e32 v1, 0
	s_waitcnt vmcnt(0)
	global_store_dword v1, v0, s[6:7] offset:2536
	s_cmpk_lt_u32 s11, 0x27c
	s_cbranch_scc1 .LBB0_644
.LBB0_1667:
	buffer_load_dword v0, off, s[0:3], 0 offset:2556
	v_mov_b32_e32 v1, 0
	s_waitcnt vmcnt(0)
	global_store_dword v1, v0, s[6:7] offset:2540
	s_cmpk_lt_u32 s11, 0x27d
	s_cbranch_scc1 .LBB0_645
.LBB0_1668:
	buffer_load_dword v0, off, s[0:3], 0 offset:2560
	v_mov_b32_e32 v1, 0
	s_waitcnt vmcnt(0)
	global_store_dword v1, v0, s[6:7] offset:2544
	s_cmpk_lt_u32 s11, 0x27e
	s_cbranch_scc1 .LBB0_646
.LBB0_1669:
	buffer_load_dword v0, off, s[0:3], 0 offset:2564
	v_mov_b32_e32 v1, 0
	s_waitcnt vmcnt(0)
	global_store_dword v1, v0, s[6:7] offset:2548
	s_cmpk_lt_u32 s11, 0x27f
	s_cbranch_scc1 .LBB0_647
.LBB0_1670:
	buffer_load_dword v0, off, s[0:3], 0 offset:2568
	v_mov_b32_e32 v1, 0
	s_waitcnt vmcnt(0)
	global_store_dword v1, v0, s[6:7] offset:2552
	s_cmpk_lt_u32 s11, 0x280
	s_cbranch_scc1 .LBB0_648
.LBB0_1671:
	buffer_load_dword v0, off, s[0:3], 0 offset:2572
	v_mov_b32_e32 v1, 0
	s_waitcnt vmcnt(0)
	global_store_dword v1, v0, s[6:7] offset:2556
	s_cmpk_lt_u32 s11, 0x281
	s_cbranch_scc1 .LBB0_649
.LBB0_1672:
	buffer_load_dword v0, off, s[0:3], 0 offset:2576
	v_mov_b32_e32 v1, 0
	s_waitcnt vmcnt(0)
	global_store_dword v1, v0, s[6:7] offset:2560
	s_cmpk_lt_u32 s11, 0x282
	s_cbranch_scc1 .LBB0_650
.LBB0_1673:
	buffer_load_dword v0, off, s[0:3], 0 offset:2580
	v_mov_b32_e32 v1, 0
	s_waitcnt vmcnt(0)
	global_store_dword v1, v0, s[6:7] offset:2564
	s_cmpk_lt_u32 s11, 0x283
	s_cbranch_scc1 .LBB0_651
.LBB0_1674:
	buffer_load_dword v0, off, s[0:3], 0 offset:2584
	v_mov_b32_e32 v1, 0
	s_waitcnt vmcnt(0)
	global_store_dword v1, v0, s[6:7] offset:2568
	s_cmpk_lt_u32 s11, 0x284
	s_cbranch_scc1 .LBB0_652
.LBB0_1675:
	buffer_load_dword v0, off, s[0:3], 0 offset:2588
	v_mov_b32_e32 v1, 0
	s_waitcnt vmcnt(0)
	global_store_dword v1, v0, s[6:7] offset:2572
	s_cmpk_lt_u32 s11, 0x285
	s_cbranch_scc1 .LBB0_653
.LBB0_1676:
	buffer_load_dword v0, off, s[0:3], 0 offset:2592
	v_mov_b32_e32 v1, 0
	s_waitcnt vmcnt(0)
	global_store_dword v1, v0, s[6:7] offset:2576
	s_cmpk_lt_u32 s11, 0x286
	s_cbranch_scc1 .LBB0_654
.LBB0_1677:
	buffer_load_dword v0, off, s[0:3], 0 offset:2596
	v_mov_b32_e32 v1, 0
	s_waitcnt vmcnt(0)
	global_store_dword v1, v0, s[6:7] offset:2580
	s_cmpk_lt_u32 s11, 0x287
	s_cbranch_scc1 .LBB0_655
.LBB0_1678:
	buffer_load_dword v0, off, s[0:3], 0 offset:2600
	v_mov_b32_e32 v1, 0
	s_waitcnt vmcnt(0)
	global_store_dword v1, v0, s[6:7] offset:2584
	s_cmpk_lt_u32 s11, 0x288
	s_cbranch_scc1 .LBB0_656
.LBB0_1679:
	buffer_load_dword v0, off, s[0:3], 0 offset:2604
	v_mov_b32_e32 v1, 0
	s_waitcnt vmcnt(0)
	global_store_dword v1, v0, s[6:7] offset:2588
	s_cmpk_lt_u32 s11, 0x289
	s_cbranch_scc1 .LBB0_657
.LBB0_1680:
	buffer_load_dword v0, off, s[0:3], 0 offset:2608
	v_mov_b32_e32 v1, 0
	s_waitcnt vmcnt(0)
	global_store_dword v1, v0, s[6:7] offset:2592
	s_cmpk_lt_u32 s11, 0x28a
	s_cbranch_scc1 .LBB0_658
.LBB0_1681:
	buffer_load_dword v0, off, s[0:3], 0 offset:2612
	v_mov_b32_e32 v1, 0
	s_waitcnt vmcnt(0)
	global_store_dword v1, v0, s[6:7] offset:2596
	s_cmpk_lt_u32 s11, 0x28b
	s_cbranch_scc1 .LBB0_659
.LBB0_1682:
	buffer_load_dword v0, off, s[0:3], 0 offset:2616
	v_mov_b32_e32 v1, 0
	s_waitcnt vmcnt(0)
	global_store_dword v1, v0, s[6:7] offset:2600
	s_cmpk_lt_u32 s11, 0x28c
	s_cbranch_scc1 .LBB0_660
.LBB0_1683:
	buffer_load_dword v0, off, s[0:3], 0 offset:2620
	v_mov_b32_e32 v1, 0
	s_waitcnt vmcnt(0)
	global_store_dword v1, v0, s[6:7] offset:2604
	s_cmpk_lt_u32 s11, 0x28d
	s_cbranch_scc1 .LBB0_661
.LBB0_1684:
	buffer_load_dword v0, off, s[0:3], 0 offset:2624
	v_mov_b32_e32 v1, 0
	s_waitcnt vmcnt(0)
	global_store_dword v1, v0, s[6:7] offset:2608
	s_cmpk_lt_u32 s11, 0x28e
	s_cbranch_scc1 .LBB0_662
.LBB0_1685:
	buffer_load_dword v0, off, s[0:3], 0 offset:2628
	v_mov_b32_e32 v1, 0
	s_waitcnt vmcnt(0)
	global_store_dword v1, v0, s[6:7] offset:2612
	s_cmpk_lt_u32 s11, 0x28f
	s_cbranch_scc1 .LBB0_663
.LBB0_1686:
	buffer_load_dword v0, off, s[0:3], 0 offset:2632
	v_mov_b32_e32 v1, 0
	s_waitcnt vmcnt(0)
	global_store_dword v1, v0, s[6:7] offset:2616
	s_cmpk_lt_u32 s11, 0x290
	s_cbranch_scc1 .LBB0_664
.LBB0_1687:
	buffer_load_dword v0, off, s[0:3], 0 offset:2636
	v_mov_b32_e32 v1, 0
	s_waitcnt vmcnt(0)
	global_store_dword v1, v0, s[6:7] offset:2620
	s_cmpk_lt_u32 s11, 0x291
	s_cbranch_scc1 .LBB0_665
.LBB0_1688:
	buffer_load_dword v0, off, s[0:3], 0 offset:2640
	v_mov_b32_e32 v1, 0
	s_waitcnt vmcnt(0)
	global_store_dword v1, v0, s[6:7] offset:2624
	s_cmpk_lt_u32 s11, 0x292
	s_cbranch_scc1 .LBB0_666
.LBB0_1689:
	buffer_load_dword v0, off, s[0:3], 0 offset:2644
	v_mov_b32_e32 v1, 0
	s_waitcnt vmcnt(0)
	global_store_dword v1, v0, s[6:7] offset:2628
	s_cmpk_lt_u32 s11, 0x293
	s_cbranch_scc1 .LBB0_667
.LBB0_1690:
	buffer_load_dword v0, off, s[0:3], 0 offset:2648
	v_mov_b32_e32 v1, 0
	s_waitcnt vmcnt(0)
	global_store_dword v1, v0, s[6:7] offset:2632
	s_cmpk_lt_u32 s11, 0x294
	s_cbranch_scc1 .LBB0_668
.LBB0_1691:
	buffer_load_dword v0, off, s[0:3], 0 offset:2652
	v_mov_b32_e32 v1, 0
	s_waitcnt vmcnt(0)
	global_store_dword v1, v0, s[6:7] offset:2636
	s_cmpk_lt_u32 s11, 0x295
	s_cbranch_scc1 .LBB0_669
.LBB0_1692:
	buffer_load_dword v0, off, s[0:3], 0 offset:2656
	v_mov_b32_e32 v1, 0
	s_waitcnt vmcnt(0)
	global_store_dword v1, v0, s[6:7] offset:2640
	s_cmpk_lt_u32 s11, 0x296
	s_cbranch_scc1 .LBB0_670
.LBB0_1693:
	buffer_load_dword v0, off, s[0:3], 0 offset:2660
	v_mov_b32_e32 v1, 0
	s_waitcnt vmcnt(0)
	global_store_dword v1, v0, s[6:7] offset:2644
	s_cmpk_lt_u32 s11, 0x297
	s_cbranch_scc1 .LBB0_671
.LBB0_1694:
	buffer_load_dword v0, off, s[0:3], 0 offset:2664
	v_mov_b32_e32 v1, 0
	s_waitcnt vmcnt(0)
	global_store_dword v1, v0, s[6:7] offset:2648
	s_cmpk_lt_u32 s11, 0x298
	s_cbranch_scc1 .LBB0_672
.LBB0_1695:
	buffer_load_dword v0, off, s[0:3], 0 offset:2668
	v_mov_b32_e32 v1, 0
	s_waitcnt vmcnt(0)
	global_store_dword v1, v0, s[6:7] offset:2652
	s_cmpk_lt_u32 s11, 0x299
	s_cbranch_scc1 .LBB0_673
.LBB0_1696:
	buffer_load_dword v0, off, s[0:3], 0 offset:2672
	v_mov_b32_e32 v1, 0
	s_waitcnt vmcnt(0)
	global_store_dword v1, v0, s[6:7] offset:2656
	s_cmpk_lt_u32 s11, 0x29a
	s_cbranch_scc1 .LBB0_674
.LBB0_1697:
	buffer_load_dword v0, off, s[0:3], 0 offset:2676
	v_mov_b32_e32 v1, 0
	s_waitcnt vmcnt(0)
	global_store_dword v1, v0, s[6:7] offset:2660
	s_cmpk_lt_u32 s11, 0x29b
	s_cbranch_scc1 .LBB0_675
.LBB0_1698:
	buffer_load_dword v0, off, s[0:3], 0 offset:2680
	v_mov_b32_e32 v1, 0
	s_waitcnt vmcnt(0)
	global_store_dword v1, v0, s[6:7] offset:2664
	s_cmpk_lt_u32 s11, 0x29c
	s_cbranch_scc1 .LBB0_676
.LBB0_1699:
	buffer_load_dword v0, off, s[0:3], 0 offset:2684
	v_mov_b32_e32 v1, 0
	s_waitcnt vmcnt(0)
	global_store_dword v1, v0, s[6:7] offset:2668
	s_cmpk_lt_u32 s11, 0x29d
	s_cbranch_scc1 .LBB0_677
.LBB0_1700:
	buffer_load_dword v0, off, s[0:3], 0 offset:2688
	v_mov_b32_e32 v1, 0
	s_waitcnt vmcnt(0)
	global_store_dword v1, v0, s[6:7] offset:2672
	s_cmpk_lt_u32 s11, 0x29e
	s_cbranch_scc1 .LBB0_678
.LBB0_1701:
	buffer_load_dword v0, off, s[0:3], 0 offset:2692
	v_mov_b32_e32 v1, 0
	s_waitcnt vmcnt(0)
	global_store_dword v1, v0, s[6:7] offset:2676
	s_cmpk_lt_u32 s11, 0x29f
	s_cbranch_scc1 .LBB0_679
.LBB0_1702:
	buffer_load_dword v0, off, s[0:3], 0 offset:2696
	v_mov_b32_e32 v1, 0
	s_waitcnt vmcnt(0)
	global_store_dword v1, v0, s[6:7] offset:2680
	s_cmpk_lt_u32 s11, 0x2a0
	s_cbranch_scc1 .LBB0_680
.LBB0_1703:
	buffer_load_dword v0, off, s[0:3], 0 offset:2700
	v_mov_b32_e32 v1, 0
	s_waitcnt vmcnt(0)
	global_store_dword v1, v0, s[6:7] offset:2684
	s_cmpk_lt_u32 s11, 0x2a1
	s_cbranch_scc1 .LBB0_681
.LBB0_1704:
	buffer_load_dword v0, off, s[0:3], 0 offset:2704
	v_mov_b32_e32 v1, 0
	s_waitcnt vmcnt(0)
	global_store_dword v1, v0, s[6:7] offset:2688
	s_cmpk_lt_u32 s11, 0x2a2
	s_cbranch_scc1 .LBB0_682
.LBB0_1705:
	buffer_load_dword v0, off, s[0:3], 0 offset:2708
	v_mov_b32_e32 v1, 0
	s_waitcnt vmcnt(0)
	global_store_dword v1, v0, s[6:7] offset:2692
	s_cmpk_lt_u32 s11, 0x2a3
	s_cbranch_scc1 .LBB0_683
.LBB0_1706:
	buffer_load_dword v0, off, s[0:3], 0 offset:2712
	v_mov_b32_e32 v1, 0
	s_waitcnt vmcnt(0)
	global_store_dword v1, v0, s[6:7] offset:2696
	s_cmpk_lt_u32 s11, 0x2a4
	s_cbranch_scc1 .LBB0_684
.LBB0_1707:
	buffer_load_dword v0, off, s[0:3], 0 offset:2716
	v_mov_b32_e32 v1, 0
	s_waitcnt vmcnt(0)
	global_store_dword v1, v0, s[6:7] offset:2700
	s_cmpk_lt_u32 s11, 0x2a5
	s_cbranch_scc1 .LBB0_685
.LBB0_1708:
	buffer_load_dword v0, off, s[0:3], 0 offset:2720
	v_mov_b32_e32 v1, 0
	s_waitcnt vmcnt(0)
	global_store_dword v1, v0, s[6:7] offset:2704
	s_cmpk_lt_u32 s11, 0x2a6
	s_cbranch_scc1 .LBB0_686
.LBB0_1709:
	buffer_load_dword v0, off, s[0:3], 0 offset:2724
	v_mov_b32_e32 v1, 0
	s_waitcnt vmcnt(0)
	global_store_dword v1, v0, s[6:7] offset:2708
	s_cmpk_lt_u32 s11, 0x2a7
	s_cbranch_scc1 .LBB0_687
.LBB0_1710:
	buffer_load_dword v0, off, s[0:3], 0 offset:2728
	v_mov_b32_e32 v1, 0
	s_waitcnt vmcnt(0)
	global_store_dword v1, v0, s[6:7] offset:2712
	s_cmpk_lt_u32 s11, 0x2a8
	s_cbranch_scc1 .LBB0_688
.LBB0_1711:
	buffer_load_dword v0, off, s[0:3], 0 offset:2732
	v_mov_b32_e32 v1, 0
	s_waitcnt vmcnt(0)
	global_store_dword v1, v0, s[6:7] offset:2716
	s_cmpk_lt_u32 s11, 0x2a9
	s_cbranch_scc1 .LBB0_689
.LBB0_1712:
	buffer_load_dword v0, off, s[0:3], 0 offset:2736
	v_mov_b32_e32 v1, 0
	s_waitcnt vmcnt(0)
	global_store_dword v1, v0, s[6:7] offset:2720
	s_cmpk_lt_u32 s11, 0x2aa
	s_cbranch_scc1 .LBB0_690
.LBB0_1713:
	buffer_load_dword v0, off, s[0:3], 0 offset:2740
	v_mov_b32_e32 v1, 0
	s_waitcnt vmcnt(0)
	global_store_dword v1, v0, s[6:7] offset:2724
	s_cmpk_lt_u32 s11, 0x2ab
	s_cbranch_scc1 .LBB0_691
.LBB0_1714:
	buffer_load_dword v0, off, s[0:3], 0 offset:2744
	v_mov_b32_e32 v1, 0
	s_waitcnt vmcnt(0)
	global_store_dword v1, v0, s[6:7] offset:2728
	s_cmpk_lt_u32 s11, 0x2ac
	s_cbranch_scc1 .LBB0_692
.LBB0_1715:
	buffer_load_dword v0, off, s[0:3], 0 offset:2748
	v_mov_b32_e32 v1, 0
	s_waitcnt vmcnt(0)
	global_store_dword v1, v0, s[6:7] offset:2732
	s_cmpk_lt_u32 s11, 0x2ad
	s_cbranch_scc1 .LBB0_693
.LBB0_1716:
	buffer_load_dword v0, off, s[0:3], 0 offset:2752
	v_mov_b32_e32 v1, 0
	s_waitcnt vmcnt(0)
	global_store_dword v1, v0, s[6:7] offset:2736
	s_cmpk_lt_u32 s11, 0x2ae
	s_cbranch_scc1 .LBB0_694
.LBB0_1717:
	buffer_load_dword v0, off, s[0:3], 0 offset:2756
	v_mov_b32_e32 v1, 0
	s_waitcnt vmcnt(0)
	global_store_dword v1, v0, s[6:7] offset:2740
	s_cmpk_lt_u32 s11, 0x2af
	s_cbranch_scc1 .LBB0_695
.LBB0_1718:
	buffer_load_dword v0, off, s[0:3], 0 offset:2760
	v_mov_b32_e32 v1, 0
	s_waitcnt vmcnt(0)
	global_store_dword v1, v0, s[6:7] offset:2744
	s_cmpk_lt_u32 s11, 0x2b0
	s_cbranch_scc1 .LBB0_696
.LBB0_1719:
	buffer_load_dword v0, off, s[0:3], 0 offset:2764
	v_mov_b32_e32 v1, 0
	s_waitcnt vmcnt(0)
	global_store_dword v1, v0, s[6:7] offset:2748
	s_cmpk_lt_u32 s11, 0x2b1
	s_cbranch_scc1 .LBB0_697
.LBB0_1720:
	buffer_load_dword v0, off, s[0:3], 0 offset:2768
	v_mov_b32_e32 v1, 0
	s_waitcnt vmcnt(0)
	global_store_dword v1, v0, s[6:7] offset:2752
	s_cmpk_lt_u32 s11, 0x2b2
	s_cbranch_scc1 .LBB0_698
.LBB0_1721:
	buffer_load_dword v0, off, s[0:3], 0 offset:2772
	v_mov_b32_e32 v1, 0
	s_waitcnt vmcnt(0)
	global_store_dword v1, v0, s[6:7] offset:2756
	s_cmpk_lt_u32 s11, 0x2b3
	s_cbranch_scc1 .LBB0_699
.LBB0_1722:
	buffer_load_dword v0, off, s[0:3], 0 offset:2776
	v_mov_b32_e32 v1, 0
	s_waitcnt vmcnt(0)
	global_store_dword v1, v0, s[6:7] offset:2760
	s_cmpk_lt_u32 s11, 0x2b4
	s_cbranch_scc1 .LBB0_700
.LBB0_1723:
	buffer_load_dword v0, off, s[0:3], 0 offset:2780
	v_mov_b32_e32 v1, 0
	s_waitcnt vmcnt(0)
	global_store_dword v1, v0, s[6:7] offset:2764
	s_cmpk_lt_u32 s11, 0x2b5
	s_cbranch_scc1 .LBB0_701
.LBB0_1724:
	buffer_load_dword v0, off, s[0:3], 0 offset:2784
	v_mov_b32_e32 v1, 0
	s_waitcnt vmcnt(0)
	global_store_dword v1, v0, s[6:7] offset:2768
	s_cmpk_lt_u32 s11, 0x2b6
	s_cbranch_scc1 .LBB0_702
.LBB0_1725:
	buffer_load_dword v0, off, s[0:3], 0 offset:2788
	v_mov_b32_e32 v1, 0
	s_waitcnt vmcnt(0)
	global_store_dword v1, v0, s[6:7] offset:2772
	s_cmpk_lt_u32 s11, 0x2b7
	s_cbranch_scc1 .LBB0_703
.LBB0_1726:
	buffer_load_dword v0, off, s[0:3], 0 offset:2792
	v_mov_b32_e32 v1, 0
	s_waitcnt vmcnt(0)
	global_store_dword v1, v0, s[6:7] offset:2776
	s_cmpk_lt_u32 s11, 0x2b8
	s_cbranch_scc1 .LBB0_704
.LBB0_1727:
	buffer_load_dword v0, off, s[0:3], 0 offset:2796
	v_mov_b32_e32 v1, 0
	s_waitcnt vmcnt(0)
	global_store_dword v1, v0, s[6:7] offset:2780
	s_cmpk_lt_u32 s11, 0x2b9
	s_cbranch_scc1 .LBB0_705
.LBB0_1728:
	buffer_load_dword v0, off, s[0:3], 0 offset:2800
	v_mov_b32_e32 v1, 0
	s_waitcnt vmcnt(0)
	global_store_dword v1, v0, s[6:7] offset:2784
	s_cmpk_lt_u32 s11, 0x2ba
	s_cbranch_scc1 .LBB0_706
.LBB0_1729:
	buffer_load_dword v0, off, s[0:3], 0 offset:2804
	v_mov_b32_e32 v1, 0
	s_waitcnt vmcnt(0)
	global_store_dword v1, v0, s[6:7] offset:2788
	s_cmpk_lt_u32 s11, 0x2bb
	s_cbranch_scc1 .LBB0_707
.LBB0_1730:
	buffer_load_dword v0, off, s[0:3], 0 offset:2808
	v_mov_b32_e32 v1, 0
	s_waitcnt vmcnt(0)
	global_store_dword v1, v0, s[6:7] offset:2792
	s_cmpk_lt_u32 s11, 0x2bc
	s_cbranch_scc1 .LBB0_708
.LBB0_1731:
	buffer_load_dword v0, off, s[0:3], 0 offset:2812
	v_mov_b32_e32 v1, 0
	s_waitcnt vmcnt(0)
	global_store_dword v1, v0, s[6:7] offset:2796
	s_cmpk_lt_u32 s11, 0x2bd
	s_cbranch_scc1 .LBB0_709
.LBB0_1732:
	buffer_load_dword v0, off, s[0:3], 0 offset:2816
	v_mov_b32_e32 v1, 0
	s_waitcnt vmcnt(0)
	global_store_dword v1, v0, s[6:7] offset:2800
	s_cmpk_lt_u32 s11, 0x2be
	s_cbranch_scc1 .LBB0_710
.LBB0_1733:
	buffer_load_dword v0, off, s[0:3], 0 offset:2820
	v_mov_b32_e32 v1, 0
	s_waitcnt vmcnt(0)
	global_store_dword v1, v0, s[6:7] offset:2804
	s_cmpk_lt_u32 s11, 0x2bf
	s_cbranch_scc1 .LBB0_711
.LBB0_1734:
	buffer_load_dword v0, off, s[0:3], 0 offset:2824
	v_mov_b32_e32 v1, 0
	s_waitcnt vmcnt(0)
	global_store_dword v1, v0, s[6:7] offset:2808
	s_cmpk_lt_u32 s11, 0x2c0
	s_cbranch_scc1 .LBB0_712
.LBB0_1735:
	buffer_load_dword v0, off, s[0:3], 0 offset:2828
	v_mov_b32_e32 v1, 0
	s_waitcnt vmcnt(0)
	global_store_dword v1, v0, s[6:7] offset:2812
	s_cmpk_lt_u32 s11, 0x2c1
	s_cbranch_scc1 .LBB0_713
.LBB0_1736:
	buffer_load_dword v0, off, s[0:3], 0 offset:2832
	v_mov_b32_e32 v1, 0
	s_waitcnt vmcnt(0)
	global_store_dword v1, v0, s[6:7] offset:2816
	s_cmpk_lt_u32 s11, 0x2c2
	s_cbranch_scc1 .LBB0_714
.LBB0_1737:
	buffer_load_dword v0, off, s[0:3], 0 offset:2836
	v_mov_b32_e32 v1, 0
	s_waitcnt vmcnt(0)
	global_store_dword v1, v0, s[6:7] offset:2820
	s_cmpk_lt_u32 s11, 0x2c3
	s_cbranch_scc1 .LBB0_715
.LBB0_1738:
	buffer_load_dword v0, off, s[0:3], 0 offset:2840
	v_mov_b32_e32 v1, 0
	s_waitcnt vmcnt(0)
	global_store_dword v1, v0, s[6:7] offset:2824
	s_cmpk_lt_u32 s11, 0x2c4
	s_cbranch_scc1 .LBB0_716
.LBB0_1739:
	buffer_load_dword v0, off, s[0:3], 0 offset:2844
	v_mov_b32_e32 v1, 0
	s_waitcnt vmcnt(0)
	global_store_dword v1, v0, s[6:7] offset:2828
	s_cmpk_lt_u32 s11, 0x2c5
	s_cbranch_scc1 .LBB0_717
.LBB0_1740:
	buffer_load_dword v0, off, s[0:3], 0 offset:2848
	v_mov_b32_e32 v1, 0
	s_waitcnt vmcnt(0)
	global_store_dword v1, v0, s[6:7] offset:2832
	s_cmpk_lt_u32 s11, 0x2c6
	s_cbranch_scc1 .LBB0_718
.LBB0_1741:
	buffer_load_dword v0, off, s[0:3], 0 offset:2852
	v_mov_b32_e32 v1, 0
	s_waitcnt vmcnt(0)
	global_store_dword v1, v0, s[6:7] offset:2836
	s_cmpk_lt_u32 s11, 0x2c7
	s_cbranch_scc1 .LBB0_719
.LBB0_1742:
	buffer_load_dword v0, off, s[0:3], 0 offset:2856
	v_mov_b32_e32 v1, 0
	s_waitcnt vmcnt(0)
	global_store_dword v1, v0, s[6:7] offset:2840
	s_cmpk_lt_u32 s11, 0x2c8
	s_cbranch_scc1 .LBB0_720
.LBB0_1743:
	buffer_load_dword v0, off, s[0:3], 0 offset:2860
	v_mov_b32_e32 v1, 0
	s_waitcnt vmcnt(0)
	global_store_dword v1, v0, s[6:7] offset:2844
	s_cmpk_lt_u32 s11, 0x2c9
	s_cbranch_scc1 .LBB0_721
.LBB0_1744:
	buffer_load_dword v0, off, s[0:3], 0 offset:2864
	v_mov_b32_e32 v1, 0
	s_waitcnt vmcnt(0)
	global_store_dword v1, v0, s[6:7] offset:2848
	s_cmpk_lt_u32 s11, 0x2ca
	s_cbranch_scc1 .LBB0_722
.LBB0_1745:
	buffer_load_dword v0, off, s[0:3], 0 offset:2868
	v_mov_b32_e32 v1, 0
	s_waitcnt vmcnt(0)
	global_store_dword v1, v0, s[6:7] offset:2852
	s_cmpk_lt_u32 s11, 0x2cb
	s_cbranch_scc1 .LBB0_723
.LBB0_1746:
	buffer_load_dword v0, off, s[0:3], 0 offset:2872
	v_mov_b32_e32 v1, 0
	s_waitcnt vmcnt(0)
	global_store_dword v1, v0, s[6:7] offset:2856
	s_cmpk_lt_u32 s11, 0x2cc
	s_cbranch_scc1 .LBB0_724
.LBB0_1747:
	buffer_load_dword v0, off, s[0:3], 0 offset:2876
	v_mov_b32_e32 v1, 0
	s_waitcnt vmcnt(0)
	global_store_dword v1, v0, s[6:7] offset:2860
	s_cmpk_lt_u32 s11, 0x2cd
	s_cbranch_scc1 .LBB0_725
.LBB0_1748:
	buffer_load_dword v0, off, s[0:3], 0 offset:2880
	v_mov_b32_e32 v1, 0
	s_waitcnt vmcnt(0)
	global_store_dword v1, v0, s[6:7] offset:2864
	s_cmpk_lt_u32 s11, 0x2ce
	s_cbranch_scc1 .LBB0_726
.LBB0_1749:
	buffer_load_dword v0, off, s[0:3], 0 offset:2884
	v_mov_b32_e32 v1, 0
	s_waitcnt vmcnt(0)
	global_store_dword v1, v0, s[6:7] offset:2868
	s_cmpk_lt_u32 s11, 0x2cf
	s_cbranch_scc1 .LBB0_727
.LBB0_1750:
	buffer_load_dword v0, off, s[0:3], 0 offset:2888
	v_mov_b32_e32 v1, 0
	s_waitcnt vmcnt(0)
	global_store_dword v1, v0, s[6:7] offset:2872
	s_cmpk_lt_u32 s11, 0x2d0
	s_cbranch_scc1 .LBB0_728
.LBB0_1751:
	buffer_load_dword v0, off, s[0:3], 0 offset:2892
	v_mov_b32_e32 v1, 0
	s_waitcnt vmcnt(0)
	global_store_dword v1, v0, s[6:7] offset:2876
	s_cmpk_lt_u32 s11, 0x2d1
	s_cbranch_scc1 .LBB0_729
.LBB0_1752:
	buffer_load_dword v0, off, s[0:3], 0 offset:2896
	v_mov_b32_e32 v1, 0
	s_waitcnt vmcnt(0)
	global_store_dword v1, v0, s[6:7] offset:2880
	s_cmpk_lt_u32 s11, 0x2d2
	s_cbranch_scc1 .LBB0_730
.LBB0_1753:
	buffer_load_dword v0, off, s[0:3], 0 offset:2900
	v_mov_b32_e32 v1, 0
	s_waitcnt vmcnt(0)
	global_store_dword v1, v0, s[6:7] offset:2884
	s_cmpk_lt_u32 s11, 0x2d3
	s_cbranch_scc1 .LBB0_731
.LBB0_1754:
	buffer_load_dword v0, off, s[0:3], 0 offset:2904
	v_mov_b32_e32 v1, 0
	s_waitcnt vmcnt(0)
	global_store_dword v1, v0, s[6:7] offset:2888
	s_cmpk_lt_u32 s11, 0x2d4
	s_cbranch_scc1 .LBB0_732
.LBB0_1755:
	buffer_load_dword v0, off, s[0:3], 0 offset:2908
	v_mov_b32_e32 v1, 0
	s_waitcnt vmcnt(0)
	global_store_dword v1, v0, s[6:7] offset:2892
	s_cmpk_lt_u32 s11, 0x2d5
	s_cbranch_scc1 .LBB0_733
.LBB0_1756:
	buffer_load_dword v0, off, s[0:3], 0 offset:2912
	v_mov_b32_e32 v1, 0
	s_waitcnt vmcnt(0)
	global_store_dword v1, v0, s[6:7] offset:2896
	s_cmpk_lt_u32 s11, 0x2d6
	s_cbranch_scc1 .LBB0_734
.LBB0_1757:
	buffer_load_dword v0, off, s[0:3], 0 offset:2916
	v_mov_b32_e32 v1, 0
	s_waitcnt vmcnt(0)
	global_store_dword v1, v0, s[6:7] offset:2900
	s_cmpk_lt_u32 s11, 0x2d7
	s_cbranch_scc1 .LBB0_735
.LBB0_1758:
	buffer_load_dword v0, off, s[0:3], 0 offset:2920
	v_mov_b32_e32 v1, 0
	s_waitcnt vmcnt(0)
	global_store_dword v1, v0, s[6:7] offset:2904
	s_cmpk_lt_u32 s11, 0x2d8
	s_cbranch_scc1 .LBB0_736
.LBB0_1759:
	buffer_load_dword v0, off, s[0:3], 0 offset:2924
	v_mov_b32_e32 v1, 0
	s_waitcnt vmcnt(0)
	global_store_dword v1, v0, s[6:7] offset:2908
	s_cmpk_lt_u32 s11, 0x2d9
	s_cbranch_scc1 .LBB0_737
.LBB0_1760:
	buffer_load_dword v0, off, s[0:3], 0 offset:2928
	v_mov_b32_e32 v1, 0
	s_waitcnt vmcnt(0)
	global_store_dword v1, v0, s[6:7] offset:2912
	s_cmpk_lt_u32 s11, 0x2da
	s_cbranch_scc1 .LBB0_738
.LBB0_1761:
	buffer_load_dword v0, off, s[0:3], 0 offset:2932
	v_mov_b32_e32 v1, 0
	s_waitcnt vmcnt(0)
	global_store_dword v1, v0, s[6:7] offset:2916
	s_cmpk_lt_u32 s11, 0x2db
	s_cbranch_scc1 .LBB0_739
.LBB0_1762:
	buffer_load_dword v0, off, s[0:3], 0 offset:2936
	v_mov_b32_e32 v1, 0
	s_waitcnt vmcnt(0)
	global_store_dword v1, v0, s[6:7] offset:2920
	s_cmpk_lt_u32 s11, 0x2dc
	s_cbranch_scc1 .LBB0_740
.LBB0_1763:
	buffer_load_dword v0, off, s[0:3], 0 offset:2940
	v_mov_b32_e32 v1, 0
	s_waitcnt vmcnt(0)
	global_store_dword v1, v0, s[6:7] offset:2924
	s_cmpk_lt_u32 s11, 0x2dd
	s_cbranch_scc1 .LBB0_741
.LBB0_1764:
	buffer_load_dword v0, off, s[0:3], 0 offset:2944
	v_mov_b32_e32 v1, 0
	s_waitcnt vmcnt(0)
	global_store_dword v1, v0, s[6:7] offset:2928
	s_cmpk_lt_u32 s11, 0x2de
	s_cbranch_scc1 .LBB0_742
.LBB0_1765:
	buffer_load_dword v0, off, s[0:3], 0 offset:2948
	v_mov_b32_e32 v1, 0
	s_waitcnt vmcnt(0)
	global_store_dword v1, v0, s[6:7] offset:2932
	s_cmpk_lt_u32 s11, 0x2df
	s_cbranch_scc1 .LBB0_743
.LBB0_1766:
	buffer_load_dword v0, off, s[0:3], 0 offset:2952
	v_mov_b32_e32 v1, 0
	s_waitcnt vmcnt(0)
	global_store_dword v1, v0, s[6:7] offset:2936
	s_cmpk_lt_u32 s11, 0x2e0
	s_cbranch_scc1 .LBB0_744
.LBB0_1767:
	buffer_load_dword v0, off, s[0:3], 0 offset:2956
	v_mov_b32_e32 v1, 0
	s_waitcnt vmcnt(0)
	global_store_dword v1, v0, s[6:7] offset:2940
	s_cmpk_lt_u32 s11, 0x2e1
	s_cbranch_scc1 .LBB0_745
.LBB0_1768:
	buffer_load_dword v0, off, s[0:3], 0 offset:2960
	v_mov_b32_e32 v1, 0
	s_waitcnt vmcnt(0)
	global_store_dword v1, v0, s[6:7] offset:2944
	s_cmpk_lt_u32 s11, 0x2e2
	s_cbranch_scc1 .LBB0_746
.LBB0_1769:
	buffer_load_dword v0, off, s[0:3], 0 offset:2964
	v_mov_b32_e32 v1, 0
	s_waitcnt vmcnt(0)
	global_store_dword v1, v0, s[6:7] offset:2948
	s_cmpk_lt_u32 s11, 0x2e3
	s_cbranch_scc1 .LBB0_747
.LBB0_1770:
	buffer_load_dword v0, off, s[0:3], 0 offset:2968
	v_mov_b32_e32 v1, 0
	s_waitcnt vmcnt(0)
	global_store_dword v1, v0, s[6:7] offset:2952
	s_cmpk_lt_u32 s11, 0x2e4
	s_cbranch_scc1 .LBB0_748
.LBB0_1771:
	buffer_load_dword v0, off, s[0:3], 0 offset:2972
	v_mov_b32_e32 v1, 0
	s_waitcnt vmcnt(0)
	global_store_dword v1, v0, s[6:7] offset:2956
	s_cmpk_lt_u32 s11, 0x2e5
	s_cbranch_scc1 .LBB0_749
.LBB0_1772:
	buffer_load_dword v0, off, s[0:3], 0 offset:2976
	v_mov_b32_e32 v1, 0
	s_waitcnt vmcnt(0)
	global_store_dword v1, v0, s[6:7] offset:2960
	s_cmpk_lt_u32 s11, 0x2e6
	s_cbranch_scc1 .LBB0_750
.LBB0_1773:
	buffer_load_dword v0, off, s[0:3], 0 offset:2980
	v_mov_b32_e32 v1, 0
	s_waitcnt vmcnt(0)
	global_store_dword v1, v0, s[6:7] offset:2964
	s_cmpk_lt_u32 s11, 0x2e7
	s_cbranch_scc1 .LBB0_751
.LBB0_1774:
	buffer_load_dword v0, off, s[0:3], 0 offset:2984
	v_mov_b32_e32 v1, 0
	s_waitcnt vmcnt(0)
	global_store_dword v1, v0, s[6:7] offset:2968
	s_cmpk_lt_u32 s11, 0x2e8
	s_cbranch_scc1 .LBB0_752
.LBB0_1775:
	buffer_load_dword v0, off, s[0:3], 0 offset:2988
	v_mov_b32_e32 v1, 0
	s_waitcnt vmcnt(0)
	global_store_dword v1, v0, s[6:7] offset:2972
	s_cmpk_lt_u32 s11, 0x2e9
	s_cbranch_scc1 .LBB0_753
.LBB0_1776:
	buffer_load_dword v0, off, s[0:3], 0 offset:2992
	v_mov_b32_e32 v1, 0
	s_waitcnt vmcnt(0)
	global_store_dword v1, v0, s[6:7] offset:2976
	s_cmpk_lt_u32 s11, 0x2ea
	s_cbranch_scc1 .LBB0_754
.LBB0_1777:
	buffer_load_dword v0, off, s[0:3], 0 offset:2996
	v_mov_b32_e32 v1, 0
	s_waitcnt vmcnt(0)
	global_store_dword v1, v0, s[6:7] offset:2980
	s_cmpk_lt_u32 s11, 0x2eb
	s_cbranch_scc1 .LBB0_755
.LBB0_1778:
	buffer_load_dword v0, off, s[0:3], 0 offset:3000
	v_mov_b32_e32 v1, 0
	s_waitcnt vmcnt(0)
	global_store_dword v1, v0, s[6:7] offset:2984
	s_cmpk_lt_u32 s11, 0x2ec
	s_cbranch_scc1 .LBB0_756
.LBB0_1779:
	buffer_load_dword v0, off, s[0:3], 0 offset:3004
	v_mov_b32_e32 v1, 0
	s_waitcnt vmcnt(0)
	global_store_dword v1, v0, s[6:7] offset:2988
	s_cmpk_lt_u32 s11, 0x2ed
	s_cbranch_scc1 .LBB0_757
.LBB0_1780:
	buffer_load_dword v0, off, s[0:3], 0 offset:3008
	v_mov_b32_e32 v1, 0
	s_waitcnt vmcnt(0)
	global_store_dword v1, v0, s[6:7] offset:2992
	s_cmpk_lt_u32 s11, 0x2ee
	s_cbranch_scc1 .LBB0_758
.LBB0_1781:
	buffer_load_dword v0, off, s[0:3], 0 offset:3012
	v_mov_b32_e32 v1, 0
	s_waitcnt vmcnt(0)
	global_store_dword v1, v0, s[6:7] offset:2996
	s_cmpk_lt_u32 s11, 0x2ef
	s_cbranch_scc1 .LBB0_759
.LBB0_1782:
	buffer_load_dword v0, off, s[0:3], 0 offset:3016
	v_mov_b32_e32 v1, 0
	s_waitcnt vmcnt(0)
	global_store_dword v1, v0, s[6:7] offset:3000
	s_cmpk_lt_u32 s11, 0x2f0
	s_cbranch_scc1 .LBB0_760
.LBB0_1783:
	buffer_load_dword v0, off, s[0:3], 0 offset:3020
	v_mov_b32_e32 v1, 0
	s_waitcnt vmcnt(0)
	global_store_dword v1, v0, s[6:7] offset:3004
	s_cmpk_lt_u32 s11, 0x2f1
	s_cbranch_scc1 .LBB0_761
.LBB0_1784:
	buffer_load_dword v0, off, s[0:3], 0 offset:3024
	v_mov_b32_e32 v1, 0
	s_waitcnt vmcnt(0)
	global_store_dword v1, v0, s[6:7] offset:3008
	s_cmpk_lt_u32 s11, 0x2f2
	s_cbranch_scc1 .LBB0_762
.LBB0_1785:
	buffer_load_dword v0, off, s[0:3], 0 offset:3028
	v_mov_b32_e32 v1, 0
	s_waitcnt vmcnt(0)
	global_store_dword v1, v0, s[6:7] offset:3012
	s_cmpk_lt_u32 s11, 0x2f3
	s_cbranch_scc1 .LBB0_763
.LBB0_1786:
	buffer_load_dword v0, off, s[0:3], 0 offset:3032
	v_mov_b32_e32 v1, 0
	s_waitcnt vmcnt(0)
	global_store_dword v1, v0, s[6:7] offset:3016
	s_cmpk_lt_u32 s11, 0x2f4
	s_cbranch_scc1 .LBB0_764
.LBB0_1787:
	buffer_load_dword v0, off, s[0:3], 0 offset:3036
	v_mov_b32_e32 v1, 0
	s_waitcnt vmcnt(0)
	global_store_dword v1, v0, s[6:7] offset:3020
	s_cmpk_lt_u32 s11, 0x2f5
	s_cbranch_scc1 .LBB0_765
.LBB0_1788:
	buffer_load_dword v0, off, s[0:3], 0 offset:3040
	v_mov_b32_e32 v1, 0
	s_waitcnt vmcnt(0)
	global_store_dword v1, v0, s[6:7] offset:3024
	s_cmpk_lt_u32 s11, 0x2f6
	s_cbranch_scc1 .LBB0_766
.LBB0_1789:
	buffer_load_dword v0, off, s[0:3], 0 offset:3044
	v_mov_b32_e32 v1, 0
	s_waitcnt vmcnt(0)
	global_store_dword v1, v0, s[6:7] offset:3028
	s_cmpk_lt_u32 s11, 0x2f7
	s_cbranch_scc1 .LBB0_767
.LBB0_1790:
	buffer_load_dword v0, off, s[0:3], 0 offset:3048
	v_mov_b32_e32 v1, 0
	s_waitcnt vmcnt(0)
	global_store_dword v1, v0, s[6:7] offset:3032
	s_cmpk_lt_u32 s11, 0x2f8
	s_cbranch_scc1 .LBB0_768
.LBB0_1791:
	buffer_load_dword v0, off, s[0:3], 0 offset:3052
	v_mov_b32_e32 v1, 0
	s_waitcnt vmcnt(0)
	global_store_dword v1, v0, s[6:7] offset:3036
	s_cmpk_lt_u32 s11, 0x2f9
	s_cbranch_scc1 .LBB0_769
.LBB0_1792:
	buffer_load_dword v0, off, s[0:3], 0 offset:3056
	v_mov_b32_e32 v1, 0
	s_waitcnt vmcnt(0)
	global_store_dword v1, v0, s[6:7] offset:3040
	s_cmpk_lt_u32 s11, 0x2fa
	s_cbranch_scc1 .LBB0_770
.LBB0_1793:
	buffer_load_dword v0, off, s[0:3], 0 offset:3060
	v_mov_b32_e32 v1, 0
	s_waitcnt vmcnt(0)
	global_store_dword v1, v0, s[6:7] offset:3044
	s_cmpk_lt_u32 s11, 0x2fb
	s_cbranch_scc1 .LBB0_771
.LBB0_1794:
	buffer_load_dword v0, off, s[0:3], 0 offset:3064
	v_mov_b32_e32 v1, 0
	s_waitcnt vmcnt(0)
	global_store_dword v1, v0, s[6:7] offset:3048
	s_cmpk_lt_u32 s11, 0x2fc
	s_cbranch_scc1 .LBB0_772
.LBB0_1795:
	buffer_load_dword v0, off, s[0:3], 0 offset:3068
	v_mov_b32_e32 v1, 0
	s_waitcnt vmcnt(0)
	global_store_dword v1, v0, s[6:7] offset:3052
	s_cmpk_lt_u32 s11, 0x2fd
	s_cbranch_scc1 .LBB0_773
.LBB0_1796:
	buffer_load_dword v0, off, s[0:3], 0 offset:3072
	v_mov_b32_e32 v1, 0
	s_waitcnt vmcnt(0)
	global_store_dword v1, v0, s[6:7] offset:3056
	s_cmpk_lt_u32 s11, 0x2fe
	s_cbranch_scc1 .LBB0_774
.LBB0_1797:
	buffer_load_dword v0, off, s[0:3], 0 offset:3076
	v_mov_b32_e32 v1, 0
	s_waitcnt vmcnt(0)
	global_store_dword v1, v0, s[6:7] offset:3060
	s_cmpk_lt_u32 s11, 0x2ff
	s_cbranch_scc1 .LBB0_775
.LBB0_1798:
	buffer_load_dword v0, off, s[0:3], 0 offset:3080
	v_mov_b32_e32 v1, 0
	s_waitcnt vmcnt(0)
	global_store_dword v1, v0, s[6:7] offset:3064
	s_cmpk_lt_u32 s11, 0x300
	s_cbranch_scc1 .LBB0_776
.LBB0_1799:
	buffer_load_dword v0, off, s[0:3], 0 offset:3084
	v_mov_b32_e32 v1, 0
	s_waitcnt vmcnt(0)
	global_store_dword v1, v0, s[6:7] offset:3068
	s_cmpk_lt_u32 s11, 0x301
	s_cbranch_scc1 .LBB0_777
.LBB0_1800:
	buffer_load_dword v0, off, s[0:3], 0 offset:3088
	v_mov_b32_e32 v1, 0
	s_waitcnt vmcnt(0)
	global_store_dword v1, v0, s[6:7] offset:3072
	s_cmpk_lt_u32 s11, 0x302
	s_cbranch_scc1 .LBB0_778
.LBB0_1801:
	buffer_load_dword v0, off, s[0:3], 0 offset:3092
	v_mov_b32_e32 v1, 0
	s_waitcnt vmcnt(0)
	global_store_dword v1, v0, s[6:7] offset:3076
	s_cmpk_lt_u32 s11, 0x303
	s_cbranch_scc1 .LBB0_779
.LBB0_1802:
	buffer_load_dword v0, off, s[0:3], 0 offset:3096
	v_mov_b32_e32 v1, 0
	s_waitcnt vmcnt(0)
	global_store_dword v1, v0, s[6:7] offset:3080
	s_cmpk_lt_u32 s11, 0x304
	s_cbranch_scc1 .LBB0_780
.LBB0_1803:
	buffer_load_dword v0, off, s[0:3], 0 offset:3100
	v_mov_b32_e32 v1, 0
	s_waitcnt vmcnt(0)
	global_store_dword v1, v0, s[6:7] offset:3084
	s_cmpk_lt_u32 s11, 0x305
	s_cbranch_scc1 .LBB0_781
.LBB0_1804:
	buffer_load_dword v0, off, s[0:3], 0 offset:3104
	v_mov_b32_e32 v1, 0
	s_waitcnt vmcnt(0)
	global_store_dword v1, v0, s[6:7] offset:3088
	s_cmpk_lt_u32 s11, 0x306
	s_cbranch_scc1 .LBB0_782
.LBB0_1805:
	buffer_load_dword v0, off, s[0:3], 0 offset:3108
	v_mov_b32_e32 v1, 0
	s_waitcnt vmcnt(0)
	global_store_dword v1, v0, s[6:7] offset:3092
	s_cmpk_lt_u32 s11, 0x307
	s_cbranch_scc1 .LBB0_783
.LBB0_1806:
	buffer_load_dword v0, off, s[0:3], 0 offset:3112
	v_mov_b32_e32 v1, 0
	s_waitcnt vmcnt(0)
	global_store_dword v1, v0, s[6:7] offset:3096
	s_cmpk_lt_u32 s11, 0x308
	s_cbranch_scc1 .LBB0_784
.LBB0_1807:
	buffer_load_dword v0, off, s[0:3], 0 offset:3116
	v_mov_b32_e32 v1, 0
	s_waitcnt vmcnt(0)
	global_store_dword v1, v0, s[6:7] offset:3100
	s_cmpk_lt_u32 s11, 0x309
	s_cbranch_scc1 .LBB0_785
.LBB0_1808:
	buffer_load_dword v0, off, s[0:3], 0 offset:3120
	v_mov_b32_e32 v1, 0
	s_waitcnt vmcnt(0)
	global_store_dword v1, v0, s[6:7] offset:3104
	s_cmpk_lt_u32 s11, 0x30a
	s_cbranch_scc1 .LBB0_786
.LBB0_1809:
	buffer_load_dword v0, off, s[0:3], 0 offset:3124
	v_mov_b32_e32 v1, 0
	s_waitcnt vmcnt(0)
	global_store_dword v1, v0, s[6:7] offset:3108
	s_cmpk_lt_u32 s11, 0x30b
	s_cbranch_scc1 .LBB0_787
.LBB0_1810:
	buffer_load_dword v0, off, s[0:3], 0 offset:3128
	v_mov_b32_e32 v1, 0
	s_waitcnt vmcnt(0)
	global_store_dword v1, v0, s[6:7] offset:3112
	s_cmpk_lt_u32 s11, 0x30c
	s_cbranch_scc1 .LBB0_788
.LBB0_1811:
	buffer_load_dword v0, off, s[0:3], 0 offset:3132
	v_mov_b32_e32 v1, 0
	s_waitcnt vmcnt(0)
	global_store_dword v1, v0, s[6:7] offset:3116
	s_cmpk_lt_u32 s11, 0x30d
	s_cbranch_scc1 .LBB0_789
.LBB0_1812:
	buffer_load_dword v0, off, s[0:3], 0 offset:3136
	v_mov_b32_e32 v1, 0
	s_waitcnt vmcnt(0)
	global_store_dword v1, v0, s[6:7] offset:3120
	s_cmpk_lt_u32 s11, 0x30e
	s_cbranch_scc1 .LBB0_790
.LBB0_1813:
	buffer_load_dword v0, off, s[0:3], 0 offset:3140
	v_mov_b32_e32 v1, 0
	s_waitcnt vmcnt(0)
	global_store_dword v1, v0, s[6:7] offset:3124
	s_cmpk_lt_u32 s11, 0x30f
	s_cbranch_scc1 .LBB0_791
.LBB0_1814:
	buffer_load_dword v0, off, s[0:3], 0 offset:3144
	v_mov_b32_e32 v1, 0
	s_waitcnt vmcnt(0)
	global_store_dword v1, v0, s[6:7] offset:3128
	s_cmpk_lt_u32 s11, 0x310
	s_cbranch_scc1 .LBB0_792
.LBB0_1815:
	buffer_load_dword v0, off, s[0:3], 0 offset:3148
	v_mov_b32_e32 v1, 0
	s_waitcnt vmcnt(0)
	global_store_dword v1, v0, s[6:7] offset:3132
	s_cmpk_lt_u32 s11, 0x311
	s_cbranch_scc1 .LBB0_793
.LBB0_1816:
	buffer_load_dword v0, off, s[0:3], 0 offset:3152
	v_mov_b32_e32 v1, 0
	s_waitcnt vmcnt(0)
	global_store_dword v1, v0, s[6:7] offset:3136
	s_cmpk_lt_u32 s11, 0x312
	s_cbranch_scc1 .LBB0_794
.LBB0_1817:
	buffer_load_dword v0, off, s[0:3], 0 offset:3156
	v_mov_b32_e32 v1, 0
	s_waitcnt vmcnt(0)
	global_store_dword v1, v0, s[6:7] offset:3140
	s_cmpk_lt_u32 s11, 0x313
	s_cbranch_scc1 .LBB0_795
.LBB0_1818:
	buffer_load_dword v0, off, s[0:3], 0 offset:3160
	v_mov_b32_e32 v1, 0
	s_waitcnt vmcnt(0)
	global_store_dword v1, v0, s[6:7] offset:3144
	s_cmpk_lt_u32 s11, 0x314
	s_cbranch_scc1 .LBB0_796
.LBB0_1819:
	buffer_load_dword v0, off, s[0:3], 0 offset:3164
	v_mov_b32_e32 v1, 0
	s_waitcnt vmcnt(0)
	global_store_dword v1, v0, s[6:7] offset:3148
	s_cmpk_lt_u32 s11, 0x315
	s_cbranch_scc1 .LBB0_797
.LBB0_1820:
	buffer_load_dword v0, off, s[0:3], 0 offset:3168
	v_mov_b32_e32 v1, 0
	s_waitcnt vmcnt(0)
	global_store_dword v1, v0, s[6:7] offset:3152
	s_cmpk_lt_u32 s11, 0x316
	s_cbranch_scc1 .LBB0_798
.LBB0_1821:
	buffer_load_dword v0, off, s[0:3], 0 offset:3172
	v_mov_b32_e32 v1, 0
	s_waitcnt vmcnt(0)
	global_store_dword v1, v0, s[6:7] offset:3156
	s_cmpk_lt_u32 s11, 0x317
	s_cbranch_scc1 .LBB0_799
.LBB0_1822:
	buffer_load_dword v0, off, s[0:3], 0 offset:3176
	v_mov_b32_e32 v1, 0
	s_waitcnt vmcnt(0)
	global_store_dword v1, v0, s[6:7] offset:3160
	s_cmpk_lt_u32 s11, 0x318
	s_cbranch_scc1 .LBB0_800
.LBB0_1823:
	buffer_load_dword v0, off, s[0:3], 0 offset:3180
	v_mov_b32_e32 v1, 0
	s_waitcnt vmcnt(0)
	global_store_dword v1, v0, s[6:7] offset:3164
	s_cmpk_lt_u32 s11, 0x319
	s_cbranch_scc1 .LBB0_801
.LBB0_1824:
	buffer_load_dword v0, off, s[0:3], 0 offset:3184
	v_mov_b32_e32 v1, 0
	s_waitcnt vmcnt(0)
	global_store_dword v1, v0, s[6:7] offset:3168
	s_cmpk_lt_u32 s11, 0x31a
	s_cbranch_scc1 .LBB0_802
.LBB0_1825:
	buffer_load_dword v0, off, s[0:3], 0 offset:3188
	v_mov_b32_e32 v1, 0
	s_waitcnt vmcnt(0)
	global_store_dword v1, v0, s[6:7] offset:3172
	s_cmpk_lt_u32 s11, 0x31b
	s_cbranch_scc1 .LBB0_803
.LBB0_1826:
	buffer_load_dword v0, off, s[0:3], 0 offset:3192
	v_mov_b32_e32 v1, 0
	s_waitcnt vmcnt(0)
	global_store_dword v1, v0, s[6:7] offset:3176
	s_cmpk_lt_u32 s11, 0x31c
	s_cbranch_scc1 .LBB0_804
.LBB0_1827:
	buffer_load_dword v0, off, s[0:3], 0 offset:3196
	v_mov_b32_e32 v1, 0
	s_waitcnt vmcnt(0)
	global_store_dword v1, v0, s[6:7] offset:3180
	s_cmpk_lt_u32 s11, 0x31d
	s_cbranch_scc1 .LBB0_805
.LBB0_1828:
	buffer_load_dword v0, off, s[0:3], 0 offset:3200
	v_mov_b32_e32 v1, 0
	s_waitcnt vmcnt(0)
	global_store_dword v1, v0, s[6:7] offset:3184
	s_cmpk_lt_u32 s11, 0x31e
	s_cbranch_scc1 .LBB0_806
.LBB0_1829:
	buffer_load_dword v0, off, s[0:3], 0 offset:3204
	v_mov_b32_e32 v1, 0
	s_waitcnt vmcnt(0)
	global_store_dword v1, v0, s[6:7] offset:3188
	s_cmpk_lt_u32 s11, 0x31f
	s_cbranch_scc1 .LBB0_807
.LBB0_1830:
	buffer_load_dword v0, off, s[0:3], 0 offset:3208
	v_mov_b32_e32 v1, 0
	s_waitcnt vmcnt(0)
	global_store_dword v1, v0, s[6:7] offset:3192
	s_cmpk_lt_u32 s11, 0x320
	s_cbranch_scc1 .LBB0_808
.LBB0_1831:
	buffer_load_dword v0, off, s[0:3], 0 offset:3212
	v_mov_b32_e32 v1, 0
	s_waitcnt vmcnt(0)
	global_store_dword v1, v0, s[6:7] offset:3196
	s_cmpk_lt_u32 s11, 0x321
	s_cbranch_scc1 .LBB0_809
.LBB0_1832:
	buffer_load_dword v0, off, s[0:3], 0 offset:3216
	v_mov_b32_e32 v1, 0
	s_waitcnt vmcnt(0)
	global_store_dword v1, v0, s[6:7] offset:3200
	s_cmpk_lt_u32 s11, 0x322
	s_cbranch_scc1 .LBB0_810
.LBB0_1833:
	buffer_load_dword v0, off, s[0:3], 0 offset:3220
	v_mov_b32_e32 v1, 0
	s_waitcnt vmcnt(0)
	global_store_dword v1, v0, s[6:7] offset:3204
	s_cmpk_lt_u32 s11, 0x323
	s_cbranch_scc1 .LBB0_811
.LBB0_1834:
	buffer_load_dword v0, off, s[0:3], 0 offset:3224
	v_mov_b32_e32 v1, 0
	s_waitcnt vmcnt(0)
	global_store_dword v1, v0, s[6:7] offset:3208
	s_cmpk_lt_u32 s11, 0x324
	s_cbranch_scc1 .LBB0_812
.LBB0_1835:
	buffer_load_dword v0, off, s[0:3], 0 offset:3228
	v_mov_b32_e32 v1, 0
	s_waitcnt vmcnt(0)
	global_store_dword v1, v0, s[6:7] offset:3212
	s_cmpk_lt_u32 s11, 0x325
	s_cbranch_scc1 .LBB0_813
.LBB0_1836:
	buffer_load_dword v0, off, s[0:3], 0 offset:3232
	v_mov_b32_e32 v1, 0
	s_waitcnt vmcnt(0)
	global_store_dword v1, v0, s[6:7] offset:3216
	s_cmpk_lt_u32 s11, 0x326
	s_cbranch_scc1 .LBB0_814
.LBB0_1837:
	buffer_load_dword v0, off, s[0:3], 0 offset:3236
	v_mov_b32_e32 v1, 0
	s_waitcnt vmcnt(0)
	global_store_dword v1, v0, s[6:7] offset:3220
	s_cmpk_lt_u32 s11, 0x327
	s_cbranch_scc1 .LBB0_815
.LBB0_1838:
	buffer_load_dword v0, off, s[0:3], 0 offset:3240
	v_mov_b32_e32 v1, 0
	s_waitcnt vmcnt(0)
	global_store_dword v1, v0, s[6:7] offset:3224
	s_cmpk_lt_u32 s11, 0x328
	s_cbranch_scc1 .LBB0_816
.LBB0_1839:
	buffer_load_dword v0, off, s[0:3], 0 offset:3244
	v_mov_b32_e32 v1, 0
	s_waitcnt vmcnt(0)
	global_store_dword v1, v0, s[6:7] offset:3228
	s_cmpk_lt_u32 s11, 0x329
	s_cbranch_scc1 .LBB0_817
.LBB0_1840:
	buffer_load_dword v0, off, s[0:3], 0 offset:3248
	v_mov_b32_e32 v1, 0
	s_waitcnt vmcnt(0)
	global_store_dword v1, v0, s[6:7] offset:3232
	s_cmpk_lt_u32 s11, 0x32a
	s_cbranch_scc1 .LBB0_818
.LBB0_1841:
	buffer_load_dword v0, off, s[0:3], 0 offset:3252
	v_mov_b32_e32 v1, 0
	s_waitcnt vmcnt(0)
	global_store_dword v1, v0, s[6:7] offset:3236
	s_cmpk_lt_u32 s11, 0x32b
	s_cbranch_scc1 .LBB0_819
.LBB0_1842:
	buffer_load_dword v0, off, s[0:3], 0 offset:3256
	v_mov_b32_e32 v1, 0
	s_waitcnt vmcnt(0)
	global_store_dword v1, v0, s[6:7] offset:3240
	s_cmpk_lt_u32 s11, 0x32c
	s_cbranch_scc1 .LBB0_820
.LBB0_1843:
	buffer_load_dword v0, off, s[0:3], 0 offset:3260
	v_mov_b32_e32 v1, 0
	s_waitcnt vmcnt(0)
	global_store_dword v1, v0, s[6:7] offset:3244
	s_cmpk_lt_u32 s11, 0x32d
	s_cbranch_scc1 .LBB0_821
.LBB0_1844:
	buffer_load_dword v0, off, s[0:3], 0 offset:3264
	v_mov_b32_e32 v1, 0
	s_waitcnt vmcnt(0)
	global_store_dword v1, v0, s[6:7] offset:3248
	s_cmpk_lt_u32 s11, 0x32e
	s_cbranch_scc1 .LBB0_822
.LBB0_1845:
	buffer_load_dword v0, off, s[0:3], 0 offset:3268
	v_mov_b32_e32 v1, 0
	s_waitcnt vmcnt(0)
	global_store_dword v1, v0, s[6:7] offset:3252
	s_cmpk_lt_u32 s11, 0x32f
	s_cbranch_scc1 .LBB0_823
.LBB0_1846:
	buffer_load_dword v0, off, s[0:3], 0 offset:3272
	v_mov_b32_e32 v1, 0
	s_waitcnt vmcnt(0)
	global_store_dword v1, v0, s[6:7] offset:3256
	s_cmpk_lt_u32 s11, 0x330
	s_cbranch_scc1 .LBB0_824
.LBB0_1847:
	buffer_load_dword v0, off, s[0:3], 0 offset:3276
	v_mov_b32_e32 v1, 0
	s_waitcnt vmcnt(0)
	global_store_dword v1, v0, s[6:7] offset:3260
	s_cmpk_lt_u32 s11, 0x331
	s_cbranch_scc1 .LBB0_825
.LBB0_1848:
	buffer_load_dword v0, off, s[0:3], 0 offset:3280
	v_mov_b32_e32 v1, 0
	s_waitcnt vmcnt(0)
	global_store_dword v1, v0, s[6:7] offset:3264
	s_cmpk_lt_u32 s11, 0x332
	s_cbranch_scc1 .LBB0_826
.LBB0_1849:
	buffer_load_dword v0, off, s[0:3], 0 offset:3284
	v_mov_b32_e32 v1, 0
	s_waitcnt vmcnt(0)
	global_store_dword v1, v0, s[6:7] offset:3268
	s_cmpk_lt_u32 s11, 0x333
	s_cbranch_scc1 .LBB0_827
.LBB0_1850:
	buffer_load_dword v0, off, s[0:3], 0 offset:3288
	v_mov_b32_e32 v1, 0
	s_waitcnt vmcnt(0)
	global_store_dword v1, v0, s[6:7] offset:3272
	s_cmpk_lt_u32 s11, 0x334
	s_cbranch_scc1 .LBB0_828
.LBB0_1851:
	buffer_load_dword v0, off, s[0:3], 0 offset:3292
	v_mov_b32_e32 v1, 0
	s_waitcnt vmcnt(0)
	global_store_dword v1, v0, s[6:7] offset:3276
	s_cmpk_lt_u32 s11, 0x335
	s_cbranch_scc1 .LBB0_829
.LBB0_1852:
	buffer_load_dword v0, off, s[0:3], 0 offset:3296
	v_mov_b32_e32 v1, 0
	s_waitcnt vmcnt(0)
	global_store_dword v1, v0, s[6:7] offset:3280
	s_cmpk_lt_u32 s11, 0x336
	s_cbranch_scc1 .LBB0_830
.LBB0_1853:
	buffer_load_dword v0, off, s[0:3], 0 offset:3300
	v_mov_b32_e32 v1, 0
	s_waitcnt vmcnt(0)
	global_store_dword v1, v0, s[6:7] offset:3284
	s_cmpk_lt_u32 s11, 0x337
	s_cbranch_scc1 .LBB0_831
.LBB0_1854:
	buffer_load_dword v0, off, s[0:3], 0 offset:3304
	v_mov_b32_e32 v1, 0
	s_waitcnt vmcnt(0)
	global_store_dword v1, v0, s[6:7] offset:3288
	s_cmpk_lt_u32 s11, 0x338
	s_cbranch_scc1 .LBB0_832
.LBB0_1855:
	buffer_load_dword v0, off, s[0:3], 0 offset:3308
	v_mov_b32_e32 v1, 0
	s_waitcnt vmcnt(0)
	global_store_dword v1, v0, s[6:7] offset:3292
	s_cmpk_lt_u32 s11, 0x339
	s_cbranch_scc1 .LBB0_833
.LBB0_1856:
	buffer_load_dword v0, off, s[0:3], 0 offset:3312
	v_mov_b32_e32 v1, 0
	s_waitcnt vmcnt(0)
	global_store_dword v1, v0, s[6:7] offset:3296
	s_cmpk_lt_u32 s11, 0x33a
	s_cbranch_scc1 .LBB0_834
.LBB0_1857:
	buffer_load_dword v0, off, s[0:3], 0 offset:3316
	v_mov_b32_e32 v1, 0
	s_waitcnt vmcnt(0)
	global_store_dword v1, v0, s[6:7] offset:3300
	s_cmpk_lt_u32 s11, 0x33b
	s_cbranch_scc1 .LBB0_835
.LBB0_1858:
	buffer_load_dword v0, off, s[0:3], 0 offset:3320
	v_mov_b32_e32 v1, 0
	s_waitcnt vmcnt(0)
	global_store_dword v1, v0, s[6:7] offset:3304
	s_cmpk_lt_u32 s11, 0x33c
	s_cbranch_scc1 .LBB0_836
.LBB0_1859:
	buffer_load_dword v0, off, s[0:3], 0 offset:3324
	v_mov_b32_e32 v1, 0
	s_waitcnt vmcnt(0)
	global_store_dword v1, v0, s[6:7] offset:3308
	s_cmpk_lt_u32 s11, 0x33d
	s_cbranch_scc1 .LBB0_837
.LBB0_1860:
	buffer_load_dword v0, off, s[0:3], 0 offset:3328
	v_mov_b32_e32 v1, 0
	s_waitcnt vmcnt(0)
	global_store_dword v1, v0, s[6:7] offset:3312
	s_cmpk_lt_u32 s11, 0x33e
	s_cbranch_scc1 .LBB0_838
.LBB0_1861:
	buffer_load_dword v0, off, s[0:3], 0 offset:3332
	v_mov_b32_e32 v1, 0
	s_waitcnt vmcnt(0)
	global_store_dword v1, v0, s[6:7] offset:3316
	s_cmpk_lt_u32 s11, 0x33f
	s_cbranch_scc1 .LBB0_839
.LBB0_1862:
	buffer_load_dword v0, off, s[0:3], 0 offset:3336
	v_mov_b32_e32 v1, 0
	s_waitcnt vmcnt(0)
	global_store_dword v1, v0, s[6:7] offset:3320
	s_cmpk_lt_u32 s11, 0x340
	s_cbranch_scc1 .LBB0_840
.LBB0_1863:
	buffer_load_dword v0, off, s[0:3], 0 offset:3340
	v_mov_b32_e32 v1, 0
	s_waitcnt vmcnt(0)
	global_store_dword v1, v0, s[6:7] offset:3324
	s_cmpk_lt_u32 s11, 0x341
	s_cbranch_scc1 .LBB0_841
.LBB0_1864:
	buffer_load_dword v0, off, s[0:3], 0 offset:3344
	v_mov_b32_e32 v1, 0
	s_waitcnt vmcnt(0)
	global_store_dword v1, v0, s[6:7] offset:3328
	s_cmpk_lt_u32 s11, 0x342
	s_cbranch_scc1 .LBB0_842
.LBB0_1865:
	buffer_load_dword v0, off, s[0:3], 0 offset:3348
	v_mov_b32_e32 v1, 0
	s_waitcnt vmcnt(0)
	global_store_dword v1, v0, s[6:7] offset:3332
	s_cmpk_lt_u32 s11, 0x343
	s_cbranch_scc1 .LBB0_843
.LBB0_1866:
	buffer_load_dword v0, off, s[0:3], 0 offset:3352
	v_mov_b32_e32 v1, 0
	s_waitcnt vmcnt(0)
	global_store_dword v1, v0, s[6:7] offset:3336
	s_cmpk_lt_u32 s11, 0x344
	s_cbranch_scc1 .LBB0_844
.LBB0_1867:
	buffer_load_dword v0, off, s[0:3], 0 offset:3356
	v_mov_b32_e32 v1, 0
	s_waitcnt vmcnt(0)
	global_store_dword v1, v0, s[6:7] offset:3340
	s_cmpk_lt_u32 s11, 0x345
	s_cbranch_scc1 .LBB0_845
.LBB0_1868:
	buffer_load_dword v0, off, s[0:3], 0 offset:3360
	v_mov_b32_e32 v1, 0
	s_waitcnt vmcnt(0)
	global_store_dword v1, v0, s[6:7] offset:3344
	s_cmpk_lt_u32 s11, 0x346
	s_cbranch_scc1 .LBB0_846
.LBB0_1869:
	buffer_load_dword v0, off, s[0:3], 0 offset:3364
	v_mov_b32_e32 v1, 0
	s_waitcnt vmcnt(0)
	global_store_dword v1, v0, s[6:7] offset:3348
	s_cmpk_lt_u32 s11, 0x347
	s_cbranch_scc1 .LBB0_847
.LBB0_1870:
	buffer_load_dword v0, off, s[0:3], 0 offset:3368
	v_mov_b32_e32 v1, 0
	s_waitcnt vmcnt(0)
	global_store_dword v1, v0, s[6:7] offset:3352
	s_cmpk_lt_u32 s11, 0x348
	s_cbranch_scc1 .LBB0_848
.LBB0_1871:
	buffer_load_dword v0, off, s[0:3], 0 offset:3372
	v_mov_b32_e32 v1, 0
	s_waitcnt vmcnt(0)
	global_store_dword v1, v0, s[6:7] offset:3356
	s_cmpk_lt_u32 s11, 0x349
	s_cbranch_scc1 .LBB0_849
.LBB0_1872:
	buffer_load_dword v0, off, s[0:3], 0 offset:3376
	v_mov_b32_e32 v1, 0
	s_waitcnt vmcnt(0)
	global_store_dword v1, v0, s[6:7] offset:3360
	s_cmpk_lt_u32 s11, 0x34a
	s_cbranch_scc1 .LBB0_850
.LBB0_1873:
	buffer_load_dword v0, off, s[0:3], 0 offset:3380
	v_mov_b32_e32 v1, 0
	s_waitcnt vmcnt(0)
	global_store_dword v1, v0, s[6:7] offset:3364
	s_cmpk_lt_u32 s11, 0x34b
	s_cbranch_scc1 .LBB0_851
.LBB0_1874:
	buffer_load_dword v0, off, s[0:3], 0 offset:3384
	v_mov_b32_e32 v1, 0
	s_waitcnt vmcnt(0)
	global_store_dword v1, v0, s[6:7] offset:3368
	s_cmpk_lt_u32 s11, 0x34c
	s_cbranch_scc1 .LBB0_852
.LBB0_1875:
	buffer_load_dword v0, off, s[0:3], 0 offset:3388
	v_mov_b32_e32 v1, 0
	s_waitcnt vmcnt(0)
	global_store_dword v1, v0, s[6:7] offset:3372
	s_cmpk_lt_u32 s11, 0x34d
	s_cbranch_scc1 .LBB0_853
.LBB0_1876:
	buffer_load_dword v0, off, s[0:3], 0 offset:3392
	v_mov_b32_e32 v1, 0
	s_waitcnt vmcnt(0)
	global_store_dword v1, v0, s[6:7] offset:3376
	s_cmpk_lt_u32 s11, 0x34e
	s_cbranch_scc1 .LBB0_854
.LBB0_1877:
	buffer_load_dword v0, off, s[0:3], 0 offset:3396
	v_mov_b32_e32 v1, 0
	s_waitcnt vmcnt(0)
	global_store_dword v1, v0, s[6:7] offset:3380
	s_cmpk_lt_u32 s11, 0x34f
	s_cbranch_scc1 .LBB0_855
.LBB0_1878:
	buffer_load_dword v0, off, s[0:3], 0 offset:3400
	v_mov_b32_e32 v1, 0
	s_waitcnt vmcnt(0)
	global_store_dword v1, v0, s[6:7] offset:3384
	s_cmpk_lt_u32 s11, 0x350
	s_cbranch_scc1 .LBB0_856
.LBB0_1879:
	buffer_load_dword v0, off, s[0:3], 0 offset:3404
	v_mov_b32_e32 v1, 0
	s_waitcnt vmcnt(0)
	global_store_dword v1, v0, s[6:7] offset:3388
	s_cmpk_lt_u32 s11, 0x351
	s_cbranch_scc1 .LBB0_857
.LBB0_1880:
	buffer_load_dword v0, off, s[0:3], 0 offset:3408
	v_mov_b32_e32 v1, 0
	s_waitcnt vmcnt(0)
	global_store_dword v1, v0, s[6:7] offset:3392
	s_cmpk_lt_u32 s11, 0x352
	s_cbranch_scc1 .LBB0_858
.LBB0_1881:
	buffer_load_dword v0, off, s[0:3], 0 offset:3412
	v_mov_b32_e32 v1, 0
	s_waitcnt vmcnt(0)
	global_store_dword v1, v0, s[6:7] offset:3396
	s_cmpk_lt_u32 s11, 0x353
	s_cbranch_scc1 .LBB0_859
.LBB0_1882:
	buffer_load_dword v0, off, s[0:3], 0 offset:3416
	v_mov_b32_e32 v1, 0
	s_waitcnt vmcnt(0)
	global_store_dword v1, v0, s[6:7] offset:3400
	s_cmpk_lt_u32 s11, 0x354
	s_cbranch_scc1 .LBB0_860
.LBB0_1883:
	buffer_load_dword v0, off, s[0:3], 0 offset:3420
	v_mov_b32_e32 v1, 0
	s_waitcnt vmcnt(0)
	global_store_dword v1, v0, s[6:7] offset:3404
	s_cmpk_lt_u32 s11, 0x355
	s_cbranch_scc1 .LBB0_861
.LBB0_1884:
	buffer_load_dword v0, off, s[0:3], 0 offset:3424
	v_mov_b32_e32 v1, 0
	s_waitcnt vmcnt(0)
	global_store_dword v1, v0, s[6:7] offset:3408
	s_cmpk_lt_u32 s11, 0x356
	s_cbranch_scc1 .LBB0_862
.LBB0_1885:
	buffer_load_dword v0, off, s[0:3], 0 offset:3428
	v_mov_b32_e32 v1, 0
	s_waitcnt vmcnt(0)
	global_store_dword v1, v0, s[6:7] offset:3412
	s_cmpk_lt_u32 s11, 0x357
	s_cbranch_scc1 .LBB0_863
.LBB0_1886:
	buffer_load_dword v0, off, s[0:3], 0 offset:3432
	v_mov_b32_e32 v1, 0
	s_waitcnt vmcnt(0)
	global_store_dword v1, v0, s[6:7] offset:3416
	s_cmpk_lt_u32 s11, 0x358
	s_cbranch_scc1 .LBB0_864
.LBB0_1887:
	buffer_load_dword v0, off, s[0:3], 0 offset:3436
	v_mov_b32_e32 v1, 0
	s_waitcnt vmcnt(0)
	global_store_dword v1, v0, s[6:7] offset:3420
	s_cmpk_lt_u32 s11, 0x359
	s_cbranch_scc1 .LBB0_865
.LBB0_1888:
	buffer_load_dword v0, off, s[0:3], 0 offset:3440
	v_mov_b32_e32 v1, 0
	s_waitcnt vmcnt(0)
	global_store_dword v1, v0, s[6:7] offset:3424
	s_cmpk_lt_u32 s11, 0x35a
	s_cbranch_scc1 .LBB0_866
.LBB0_1889:
	buffer_load_dword v0, off, s[0:3], 0 offset:3444
	v_mov_b32_e32 v1, 0
	s_waitcnt vmcnt(0)
	global_store_dword v1, v0, s[6:7] offset:3428
	s_cmpk_lt_u32 s11, 0x35b
	s_cbranch_scc1 .LBB0_867
.LBB0_1890:
	buffer_load_dword v0, off, s[0:3], 0 offset:3448
	v_mov_b32_e32 v1, 0
	s_waitcnt vmcnt(0)
	global_store_dword v1, v0, s[6:7] offset:3432
	s_cmpk_lt_u32 s11, 0x35c
	s_cbranch_scc1 .LBB0_868
.LBB0_1891:
	buffer_load_dword v0, off, s[0:3], 0 offset:3452
	v_mov_b32_e32 v1, 0
	s_waitcnt vmcnt(0)
	global_store_dword v1, v0, s[6:7] offset:3436
	s_cmpk_lt_u32 s11, 0x35d
	s_cbranch_scc1 .LBB0_869
.LBB0_1892:
	buffer_load_dword v0, off, s[0:3], 0 offset:3456
	v_mov_b32_e32 v1, 0
	s_waitcnt vmcnt(0)
	global_store_dword v1, v0, s[6:7] offset:3440
	s_cmpk_lt_u32 s11, 0x35e
	s_cbranch_scc1 .LBB0_870
.LBB0_1893:
	buffer_load_dword v0, off, s[0:3], 0 offset:3460
	v_mov_b32_e32 v1, 0
	s_waitcnt vmcnt(0)
	global_store_dword v1, v0, s[6:7] offset:3444
	s_cmpk_lt_u32 s11, 0x35f
	s_cbranch_scc1 .LBB0_871
.LBB0_1894:
	buffer_load_dword v0, off, s[0:3], 0 offset:3464
	v_mov_b32_e32 v1, 0
	s_waitcnt vmcnt(0)
	global_store_dword v1, v0, s[6:7] offset:3448
	s_cmpk_lt_u32 s11, 0x360
	s_cbranch_scc1 .LBB0_872
.LBB0_1895:
	buffer_load_dword v0, off, s[0:3], 0 offset:3468
	v_mov_b32_e32 v1, 0
	s_waitcnt vmcnt(0)
	global_store_dword v1, v0, s[6:7] offset:3452
	s_cmpk_lt_u32 s11, 0x361
	s_cbranch_scc1 .LBB0_873
.LBB0_1896:
	buffer_load_dword v0, off, s[0:3], 0 offset:3472
	v_mov_b32_e32 v1, 0
	s_waitcnt vmcnt(0)
	global_store_dword v1, v0, s[6:7] offset:3456
	s_cmpk_lt_u32 s11, 0x362
	s_cbranch_scc1 .LBB0_874
.LBB0_1897:
	buffer_load_dword v0, off, s[0:3], 0 offset:3476
	v_mov_b32_e32 v1, 0
	s_waitcnt vmcnt(0)
	global_store_dword v1, v0, s[6:7] offset:3460
	s_cmpk_lt_u32 s11, 0x363
	s_cbranch_scc1 .LBB0_875
.LBB0_1898:
	buffer_load_dword v0, off, s[0:3], 0 offset:3480
	v_mov_b32_e32 v1, 0
	s_waitcnt vmcnt(0)
	global_store_dword v1, v0, s[6:7] offset:3464
	s_cmpk_lt_u32 s11, 0x364
	s_cbranch_scc1 .LBB0_876
.LBB0_1899:
	buffer_load_dword v0, off, s[0:3], 0 offset:3484
	v_mov_b32_e32 v1, 0
	s_waitcnt vmcnt(0)
	global_store_dword v1, v0, s[6:7] offset:3468
	s_cmpk_lt_u32 s11, 0x365
	s_cbranch_scc1 .LBB0_877
.LBB0_1900:
	buffer_load_dword v0, off, s[0:3], 0 offset:3488
	v_mov_b32_e32 v1, 0
	s_waitcnt vmcnt(0)
	global_store_dword v1, v0, s[6:7] offset:3472
	s_cmpk_lt_u32 s11, 0x366
	s_cbranch_scc1 .LBB0_878
.LBB0_1901:
	buffer_load_dword v0, off, s[0:3], 0 offset:3492
	v_mov_b32_e32 v1, 0
	s_waitcnt vmcnt(0)
	global_store_dword v1, v0, s[6:7] offset:3476
	s_cmpk_lt_u32 s11, 0x367
	s_cbranch_scc1 .LBB0_879
.LBB0_1902:
	buffer_load_dword v0, off, s[0:3], 0 offset:3496
	v_mov_b32_e32 v1, 0
	s_waitcnt vmcnt(0)
	global_store_dword v1, v0, s[6:7] offset:3480
	s_cmpk_lt_u32 s11, 0x368
	s_cbranch_scc1 .LBB0_880
.LBB0_1903:
	buffer_load_dword v0, off, s[0:3], 0 offset:3500
	v_mov_b32_e32 v1, 0
	s_waitcnt vmcnt(0)
	global_store_dword v1, v0, s[6:7] offset:3484
	s_cmpk_lt_u32 s11, 0x369
	s_cbranch_scc1 .LBB0_881
.LBB0_1904:
	buffer_load_dword v0, off, s[0:3], 0 offset:3504
	v_mov_b32_e32 v1, 0
	s_waitcnt vmcnt(0)
	global_store_dword v1, v0, s[6:7] offset:3488
	s_cmpk_lt_u32 s11, 0x36a
	s_cbranch_scc1 .LBB0_882
.LBB0_1905:
	buffer_load_dword v0, off, s[0:3], 0 offset:3508
	v_mov_b32_e32 v1, 0
	s_waitcnt vmcnt(0)
	global_store_dword v1, v0, s[6:7] offset:3492
	s_cmpk_lt_u32 s11, 0x36b
	s_cbranch_scc1 .LBB0_883
.LBB0_1906:
	buffer_load_dword v0, off, s[0:3], 0 offset:3512
	v_mov_b32_e32 v1, 0
	s_waitcnt vmcnt(0)
	global_store_dword v1, v0, s[6:7] offset:3496
	s_cmpk_lt_u32 s11, 0x36c
	s_cbranch_scc1 .LBB0_884
.LBB0_1907:
	buffer_load_dword v0, off, s[0:3], 0 offset:3516
	v_mov_b32_e32 v1, 0
	s_waitcnt vmcnt(0)
	global_store_dword v1, v0, s[6:7] offset:3500
	s_cmpk_lt_u32 s11, 0x36d
	s_cbranch_scc1 .LBB0_885
.LBB0_1908:
	buffer_load_dword v0, off, s[0:3], 0 offset:3520
	v_mov_b32_e32 v1, 0
	s_waitcnt vmcnt(0)
	global_store_dword v1, v0, s[6:7] offset:3504
	s_cmpk_lt_u32 s11, 0x36e
	s_cbranch_scc1 .LBB0_886
.LBB0_1909:
	buffer_load_dword v0, off, s[0:3], 0 offset:3524
	v_mov_b32_e32 v1, 0
	s_waitcnt vmcnt(0)
	global_store_dword v1, v0, s[6:7] offset:3508
	s_cmpk_lt_u32 s11, 0x36f
	s_cbranch_scc1 .LBB0_887
.LBB0_1910:
	buffer_load_dword v0, off, s[0:3], 0 offset:3528
	v_mov_b32_e32 v1, 0
	s_waitcnt vmcnt(0)
	global_store_dword v1, v0, s[6:7] offset:3512
	s_cmpk_lt_u32 s11, 0x370
	s_cbranch_scc1 .LBB0_888
.LBB0_1911:
	buffer_load_dword v0, off, s[0:3], 0 offset:3532
	v_mov_b32_e32 v1, 0
	s_waitcnt vmcnt(0)
	global_store_dword v1, v0, s[6:7] offset:3516
	s_cmpk_lt_u32 s11, 0x371
	s_cbranch_scc1 .LBB0_889
.LBB0_1912:
	buffer_load_dword v0, off, s[0:3], 0 offset:3536
	v_mov_b32_e32 v1, 0
	s_waitcnt vmcnt(0)
	global_store_dword v1, v0, s[6:7] offset:3520
	s_cmpk_lt_u32 s11, 0x372
	s_cbranch_scc1 .LBB0_890
.LBB0_1913:
	buffer_load_dword v0, off, s[0:3], 0 offset:3540
	v_mov_b32_e32 v1, 0
	s_waitcnt vmcnt(0)
	global_store_dword v1, v0, s[6:7] offset:3524
	s_cmpk_lt_u32 s11, 0x373
	s_cbranch_scc1 .LBB0_891
.LBB0_1914:
	buffer_load_dword v0, off, s[0:3], 0 offset:3544
	v_mov_b32_e32 v1, 0
	s_waitcnt vmcnt(0)
	global_store_dword v1, v0, s[6:7] offset:3528
	s_cmpk_lt_u32 s11, 0x374
	s_cbranch_scc1 .LBB0_892
.LBB0_1915:
	buffer_load_dword v0, off, s[0:3], 0 offset:3548
	v_mov_b32_e32 v1, 0
	s_waitcnt vmcnt(0)
	global_store_dword v1, v0, s[6:7] offset:3532
	s_cmpk_lt_u32 s11, 0x375
	s_cbranch_scc1 .LBB0_893
.LBB0_1916:
	buffer_load_dword v0, off, s[0:3], 0 offset:3552
	v_mov_b32_e32 v1, 0
	s_waitcnt vmcnt(0)
	global_store_dword v1, v0, s[6:7] offset:3536
	s_cmpk_lt_u32 s11, 0x376
	s_cbranch_scc1 .LBB0_894
.LBB0_1917:
	buffer_load_dword v0, off, s[0:3], 0 offset:3556
	v_mov_b32_e32 v1, 0
	s_waitcnt vmcnt(0)
	global_store_dword v1, v0, s[6:7] offset:3540
	s_cmpk_lt_u32 s11, 0x377
	s_cbranch_scc1 .LBB0_895
.LBB0_1918:
	buffer_load_dword v0, off, s[0:3], 0 offset:3560
	v_mov_b32_e32 v1, 0
	s_waitcnt vmcnt(0)
	global_store_dword v1, v0, s[6:7] offset:3544
	s_cmpk_lt_u32 s11, 0x378
	s_cbranch_scc1 .LBB0_896
.LBB0_1919:
	buffer_load_dword v0, off, s[0:3], 0 offset:3564
	v_mov_b32_e32 v1, 0
	s_waitcnt vmcnt(0)
	global_store_dword v1, v0, s[6:7] offset:3548
	s_cmpk_lt_u32 s11, 0x379
	s_cbranch_scc1 .LBB0_897
.LBB0_1920:
	buffer_load_dword v0, off, s[0:3], 0 offset:3568
	v_mov_b32_e32 v1, 0
	s_waitcnt vmcnt(0)
	global_store_dword v1, v0, s[6:7] offset:3552
	s_cmpk_lt_u32 s11, 0x37a
	s_cbranch_scc1 .LBB0_898
.LBB0_1921:
	buffer_load_dword v0, off, s[0:3], 0 offset:3572
	v_mov_b32_e32 v1, 0
	s_waitcnt vmcnt(0)
	global_store_dword v1, v0, s[6:7] offset:3556
	s_cmpk_lt_u32 s11, 0x37b
	s_cbranch_scc1 .LBB0_899
.LBB0_1922:
	buffer_load_dword v0, off, s[0:3], 0 offset:3576
	v_mov_b32_e32 v1, 0
	s_waitcnt vmcnt(0)
	global_store_dword v1, v0, s[6:7] offset:3560
	s_cmpk_lt_u32 s11, 0x37c
	s_cbranch_scc1 .LBB0_900
.LBB0_1923:
	buffer_load_dword v0, off, s[0:3], 0 offset:3580
	v_mov_b32_e32 v1, 0
	s_waitcnt vmcnt(0)
	global_store_dword v1, v0, s[6:7] offset:3564
	s_cmpk_lt_u32 s11, 0x37d
	s_cbranch_scc1 .LBB0_901
.LBB0_1924:
	buffer_load_dword v0, off, s[0:3], 0 offset:3584
	v_mov_b32_e32 v1, 0
	s_waitcnt vmcnt(0)
	global_store_dword v1, v0, s[6:7] offset:3568
	s_cmpk_lt_u32 s11, 0x37e
	s_cbranch_scc1 .LBB0_902
.LBB0_1925:
	buffer_load_dword v0, off, s[0:3], 0 offset:3588
	v_mov_b32_e32 v1, 0
	s_waitcnt vmcnt(0)
	global_store_dword v1, v0, s[6:7] offset:3572
	s_cmpk_lt_u32 s11, 0x37f
	s_cbranch_scc1 .LBB0_903
.LBB0_1926:
	buffer_load_dword v0, off, s[0:3], 0 offset:3592
	v_mov_b32_e32 v1, 0
	s_waitcnt vmcnt(0)
	global_store_dword v1, v0, s[6:7] offset:3576
	s_cmpk_lt_u32 s11, 0x380
	s_cbranch_scc1 .LBB0_904
.LBB0_1927:
	buffer_load_dword v0, off, s[0:3], 0 offset:3596
	v_mov_b32_e32 v1, 0
	s_waitcnt vmcnt(0)
	global_store_dword v1, v0, s[6:7] offset:3580
	s_cmpk_lt_u32 s11, 0x381
	s_cbranch_scc1 .LBB0_905
.LBB0_1928:
	buffer_load_dword v0, off, s[0:3], 0 offset:3600
	v_mov_b32_e32 v1, 0
	s_waitcnt vmcnt(0)
	global_store_dword v1, v0, s[6:7] offset:3584
	s_cmpk_lt_u32 s11, 0x382
	s_cbranch_scc1 .LBB0_906
.LBB0_1929:
	buffer_load_dword v0, off, s[0:3], 0 offset:3604
	v_mov_b32_e32 v1, 0
	s_waitcnt vmcnt(0)
	global_store_dword v1, v0, s[6:7] offset:3588
	s_cmpk_lt_u32 s11, 0x383
	s_cbranch_scc1 .LBB0_907
.LBB0_1930:
	buffer_load_dword v0, off, s[0:3], 0 offset:3608
	v_mov_b32_e32 v1, 0
	s_waitcnt vmcnt(0)
	global_store_dword v1, v0, s[6:7] offset:3592
	s_cmpk_lt_u32 s11, 0x384
	s_cbranch_scc1 .LBB0_908
.LBB0_1931:
	buffer_load_dword v0, off, s[0:3], 0 offset:3612
	v_mov_b32_e32 v1, 0
	s_waitcnt vmcnt(0)
	global_store_dword v1, v0, s[6:7] offset:3596
	s_cmpk_lt_u32 s11, 0x385
	s_cbranch_scc1 .LBB0_909
.LBB0_1932:
	buffer_load_dword v0, off, s[0:3], 0 offset:3616
	v_mov_b32_e32 v1, 0
	s_waitcnt vmcnt(0)
	global_store_dword v1, v0, s[6:7] offset:3600
	s_cmpk_lt_u32 s11, 0x386
	s_cbranch_scc1 .LBB0_910
.LBB0_1933:
	buffer_load_dword v0, off, s[0:3], 0 offset:3620
	v_mov_b32_e32 v1, 0
	s_waitcnt vmcnt(0)
	global_store_dword v1, v0, s[6:7] offset:3604
	s_cmpk_lt_u32 s11, 0x387
	s_cbranch_scc1 .LBB0_911
.LBB0_1934:
	buffer_load_dword v0, off, s[0:3], 0 offset:3624
	v_mov_b32_e32 v1, 0
	s_waitcnt vmcnt(0)
	global_store_dword v1, v0, s[6:7] offset:3608
	s_cmpk_lt_u32 s11, 0x388
	s_cbranch_scc1 .LBB0_912
.LBB0_1935:
	buffer_load_dword v0, off, s[0:3], 0 offset:3628
	v_mov_b32_e32 v1, 0
	s_waitcnt vmcnt(0)
	global_store_dword v1, v0, s[6:7] offset:3612
	s_cmpk_lt_u32 s11, 0x389
	s_cbranch_scc1 .LBB0_913
.LBB0_1936:
	buffer_load_dword v0, off, s[0:3], 0 offset:3632
	v_mov_b32_e32 v1, 0
	s_waitcnt vmcnt(0)
	global_store_dword v1, v0, s[6:7] offset:3616
	s_cmpk_lt_u32 s11, 0x38a
	s_cbranch_scc1 .LBB0_914
.LBB0_1937:
	buffer_load_dword v0, off, s[0:3], 0 offset:3636
	v_mov_b32_e32 v1, 0
	s_waitcnt vmcnt(0)
	global_store_dword v1, v0, s[6:7] offset:3620
	s_cmpk_lt_u32 s11, 0x38b
	s_cbranch_scc1 .LBB0_915
.LBB0_1938:
	buffer_load_dword v0, off, s[0:3], 0 offset:3640
	v_mov_b32_e32 v1, 0
	s_waitcnt vmcnt(0)
	global_store_dword v1, v0, s[6:7] offset:3624
	s_cmpk_lt_u32 s11, 0x38c
	s_cbranch_scc1 .LBB0_916
.LBB0_1939:
	buffer_load_dword v0, off, s[0:3], 0 offset:3644
	v_mov_b32_e32 v1, 0
	s_waitcnt vmcnt(0)
	global_store_dword v1, v0, s[6:7] offset:3628
	s_cmpk_lt_u32 s11, 0x38d
	s_cbranch_scc1 .LBB0_917
.LBB0_1940:
	buffer_load_dword v0, off, s[0:3], 0 offset:3648
	v_mov_b32_e32 v1, 0
	s_waitcnt vmcnt(0)
	global_store_dword v1, v0, s[6:7] offset:3632
	s_cmpk_lt_u32 s11, 0x38e
	s_cbranch_scc1 .LBB0_918
.LBB0_1941:
	buffer_load_dword v0, off, s[0:3], 0 offset:3652
	v_mov_b32_e32 v1, 0
	s_waitcnt vmcnt(0)
	global_store_dword v1, v0, s[6:7] offset:3636
	s_cmpk_lt_u32 s11, 0x38f
	s_cbranch_scc1 .LBB0_919
.LBB0_1942:
	buffer_load_dword v0, off, s[0:3], 0 offset:3656
	v_mov_b32_e32 v1, 0
	s_waitcnt vmcnt(0)
	global_store_dword v1, v0, s[6:7] offset:3640
	s_cmpk_lt_u32 s11, 0x390
	s_cbranch_scc1 .LBB0_920
.LBB0_1943:
	buffer_load_dword v0, off, s[0:3], 0 offset:3660
	v_mov_b32_e32 v1, 0
	s_waitcnt vmcnt(0)
	global_store_dword v1, v0, s[6:7] offset:3644
	s_cmpk_lt_u32 s11, 0x391
	s_cbranch_scc1 .LBB0_921
.LBB0_1944:
	buffer_load_dword v0, off, s[0:3], 0 offset:3664
	v_mov_b32_e32 v1, 0
	s_waitcnt vmcnt(0)
	global_store_dword v1, v0, s[6:7] offset:3648
	s_cmpk_lt_u32 s11, 0x392
	s_cbranch_scc1 .LBB0_922
.LBB0_1945:
	buffer_load_dword v0, off, s[0:3], 0 offset:3668
	v_mov_b32_e32 v1, 0
	s_waitcnt vmcnt(0)
	global_store_dword v1, v0, s[6:7] offset:3652
	s_cmpk_lt_u32 s11, 0x393
	s_cbranch_scc1 .LBB0_923
.LBB0_1946:
	buffer_load_dword v0, off, s[0:3], 0 offset:3672
	v_mov_b32_e32 v1, 0
	s_waitcnt vmcnt(0)
	global_store_dword v1, v0, s[6:7] offset:3656
	s_cmpk_lt_u32 s11, 0x394
	s_cbranch_scc1 .LBB0_924
.LBB0_1947:
	buffer_load_dword v0, off, s[0:3], 0 offset:3676
	v_mov_b32_e32 v1, 0
	s_waitcnt vmcnt(0)
	global_store_dword v1, v0, s[6:7] offset:3660
	s_cmpk_lt_u32 s11, 0x395
	s_cbranch_scc1 .LBB0_925
.LBB0_1948:
	buffer_load_dword v0, off, s[0:3], 0 offset:3680
	v_mov_b32_e32 v1, 0
	s_waitcnt vmcnt(0)
	global_store_dword v1, v0, s[6:7] offset:3664
	s_cmpk_lt_u32 s11, 0x396
	s_cbranch_scc1 .LBB0_926
.LBB0_1949:
	buffer_load_dword v0, off, s[0:3], 0 offset:3684
	v_mov_b32_e32 v1, 0
	s_waitcnt vmcnt(0)
	global_store_dword v1, v0, s[6:7] offset:3668
	s_cmpk_lt_u32 s11, 0x397
	s_cbranch_scc1 .LBB0_927
.LBB0_1950:
	buffer_load_dword v0, off, s[0:3], 0 offset:3688
	v_mov_b32_e32 v1, 0
	s_waitcnt vmcnt(0)
	global_store_dword v1, v0, s[6:7] offset:3672
	s_cmpk_lt_u32 s11, 0x398
	s_cbranch_scc1 .LBB0_928
.LBB0_1951:
	buffer_load_dword v0, off, s[0:3], 0 offset:3692
	v_mov_b32_e32 v1, 0
	s_waitcnt vmcnt(0)
	global_store_dword v1, v0, s[6:7] offset:3676
	s_cmpk_lt_u32 s11, 0x399
	s_cbranch_scc1 .LBB0_929
.LBB0_1952:
	buffer_load_dword v0, off, s[0:3], 0 offset:3696
	v_mov_b32_e32 v1, 0
	s_waitcnt vmcnt(0)
	global_store_dword v1, v0, s[6:7] offset:3680
	s_cmpk_lt_u32 s11, 0x39a
	s_cbranch_scc1 .LBB0_930
.LBB0_1953:
	buffer_load_dword v0, off, s[0:3], 0 offset:3700
	v_mov_b32_e32 v1, 0
	s_waitcnt vmcnt(0)
	global_store_dword v1, v0, s[6:7] offset:3684
	s_cmpk_lt_u32 s11, 0x39b
	s_cbranch_scc1 .LBB0_931
.LBB0_1954:
	buffer_load_dword v0, off, s[0:3], 0 offset:3704
	v_mov_b32_e32 v1, 0
	s_waitcnt vmcnt(0)
	global_store_dword v1, v0, s[6:7] offset:3688
	s_cmpk_lt_u32 s11, 0x39c
	s_cbranch_scc1 .LBB0_932
.LBB0_1955:
	buffer_load_dword v0, off, s[0:3], 0 offset:3708
	v_mov_b32_e32 v1, 0
	s_waitcnt vmcnt(0)
	global_store_dword v1, v0, s[6:7] offset:3692
	s_cmpk_lt_u32 s11, 0x39d
	s_cbranch_scc1 .LBB0_933
.LBB0_1956:
	buffer_load_dword v0, off, s[0:3], 0 offset:3712
	v_mov_b32_e32 v1, 0
	s_waitcnt vmcnt(0)
	global_store_dword v1, v0, s[6:7] offset:3696
	s_cmpk_lt_u32 s11, 0x39e
	s_cbranch_scc1 .LBB0_934
.LBB0_1957:
	buffer_load_dword v0, off, s[0:3], 0 offset:3716
	v_mov_b32_e32 v1, 0
	s_waitcnt vmcnt(0)
	global_store_dword v1, v0, s[6:7] offset:3700
	s_cmpk_lt_u32 s11, 0x39f
	s_cbranch_scc1 .LBB0_935
.LBB0_1958:
	buffer_load_dword v0, off, s[0:3], 0 offset:3720
	v_mov_b32_e32 v1, 0
	s_waitcnt vmcnt(0)
	global_store_dword v1, v0, s[6:7] offset:3704
	s_cmpk_lt_u32 s11, 0x3a0
	s_cbranch_scc1 .LBB0_936
.LBB0_1959:
	buffer_load_dword v0, off, s[0:3], 0 offset:3724
	v_mov_b32_e32 v1, 0
	s_waitcnt vmcnt(0)
	global_store_dword v1, v0, s[6:7] offset:3708
	s_cmpk_lt_u32 s11, 0x3a1
	s_cbranch_scc1 .LBB0_937
.LBB0_1960:
	buffer_load_dword v0, off, s[0:3], 0 offset:3728
	v_mov_b32_e32 v1, 0
	s_waitcnt vmcnt(0)
	global_store_dword v1, v0, s[6:7] offset:3712
	s_cmpk_lt_u32 s11, 0x3a2
	s_cbranch_scc1 .LBB0_938
.LBB0_1961:
	buffer_load_dword v0, off, s[0:3], 0 offset:3732
	v_mov_b32_e32 v1, 0
	s_waitcnt vmcnt(0)
	global_store_dword v1, v0, s[6:7] offset:3716
	s_cmpk_lt_u32 s11, 0x3a3
	s_cbranch_scc1 .LBB0_939
.LBB0_1962:
	buffer_load_dword v0, off, s[0:3], 0 offset:3736
	v_mov_b32_e32 v1, 0
	s_waitcnt vmcnt(0)
	global_store_dword v1, v0, s[6:7] offset:3720
	s_cmpk_lt_u32 s11, 0x3a4
	s_cbranch_scc1 .LBB0_940
.LBB0_1963:
	buffer_load_dword v0, off, s[0:3], 0 offset:3740
	v_mov_b32_e32 v1, 0
	s_waitcnt vmcnt(0)
	global_store_dword v1, v0, s[6:7] offset:3724
	s_cmpk_lt_u32 s11, 0x3a5
	s_cbranch_scc1 .LBB0_941
.LBB0_1964:
	buffer_load_dword v0, off, s[0:3], 0 offset:3744
	v_mov_b32_e32 v1, 0
	s_waitcnt vmcnt(0)
	global_store_dword v1, v0, s[6:7] offset:3728
	s_cmpk_lt_u32 s11, 0x3a6
	s_cbranch_scc1 .LBB0_942
.LBB0_1965:
	buffer_load_dword v0, off, s[0:3], 0 offset:3748
	v_mov_b32_e32 v1, 0
	s_waitcnt vmcnt(0)
	global_store_dword v1, v0, s[6:7] offset:3732
	s_cmpk_lt_u32 s11, 0x3a7
	s_cbranch_scc1 .LBB0_943
.LBB0_1966:
	buffer_load_dword v0, off, s[0:3], 0 offset:3752
	v_mov_b32_e32 v1, 0
	s_waitcnt vmcnt(0)
	global_store_dword v1, v0, s[6:7] offset:3736
	s_cmpk_lt_u32 s11, 0x3a8
	s_cbranch_scc1 .LBB0_944
.LBB0_1967:
	buffer_load_dword v0, off, s[0:3], 0 offset:3756
	v_mov_b32_e32 v1, 0
	s_waitcnt vmcnt(0)
	global_store_dword v1, v0, s[6:7] offset:3740
	s_cmpk_lt_u32 s11, 0x3a9
	s_cbranch_scc1 .LBB0_945
.LBB0_1968:
	buffer_load_dword v0, off, s[0:3], 0 offset:3760
	v_mov_b32_e32 v1, 0
	s_waitcnt vmcnt(0)
	global_store_dword v1, v0, s[6:7] offset:3744
	s_cmpk_lt_u32 s11, 0x3aa
	s_cbranch_scc1 .LBB0_946
.LBB0_1969:
	buffer_load_dword v0, off, s[0:3], 0 offset:3764
	v_mov_b32_e32 v1, 0
	s_waitcnt vmcnt(0)
	global_store_dword v1, v0, s[6:7] offset:3748
	s_cmpk_lt_u32 s11, 0x3ab
	s_cbranch_scc1 .LBB0_947
.LBB0_1970:
	buffer_load_dword v0, off, s[0:3], 0 offset:3768
	v_mov_b32_e32 v1, 0
	s_waitcnt vmcnt(0)
	global_store_dword v1, v0, s[6:7] offset:3752
	s_cmpk_lt_u32 s11, 0x3ac
	s_cbranch_scc1 .LBB0_948
.LBB0_1971:
	buffer_load_dword v0, off, s[0:3], 0 offset:3772
	v_mov_b32_e32 v1, 0
	s_waitcnt vmcnt(0)
	global_store_dword v1, v0, s[6:7] offset:3756
	s_cmpk_lt_u32 s11, 0x3ad
	s_cbranch_scc1 .LBB0_949
.LBB0_1972:
	buffer_load_dword v0, off, s[0:3], 0 offset:3776
	v_mov_b32_e32 v1, 0
	s_waitcnt vmcnt(0)
	global_store_dword v1, v0, s[6:7] offset:3760
	s_cmpk_lt_u32 s11, 0x3ae
	s_cbranch_scc1 .LBB0_950
.LBB0_1973:
	buffer_load_dword v0, off, s[0:3], 0 offset:3780
	v_mov_b32_e32 v1, 0
	s_waitcnt vmcnt(0)
	global_store_dword v1, v0, s[6:7] offset:3764
	s_cmpk_lt_u32 s11, 0x3af
	s_cbranch_scc1 .LBB0_951
.LBB0_1974:
	buffer_load_dword v0, off, s[0:3], 0 offset:3784
	v_mov_b32_e32 v1, 0
	s_waitcnt vmcnt(0)
	global_store_dword v1, v0, s[6:7] offset:3768
	s_cmpk_lt_u32 s11, 0x3b0
	s_cbranch_scc1 .LBB0_952
.LBB0_1975:
	buffer_load_dword v0, off, s[0:3], 0 offset:3788
	v_mov_b32_e32 v1, 0
	s_waitcnt vmcnt(0)
	global_store_dword v1, v0, s[6:7] offset:3772
	s_cmpk_lt_u32 s11, 0x3b1
	s_cbranch_scc1 .LBB0_953
.LBB0_1976:
	buffer_load_dword v0, off, s[0:3], 0 offset:3792
	v_mov_b32_e32 v1, 0
	s_waitcnt vmcnt(0)
	global_store_dword v1, v0, s[6:7] offset:3776
	s_cmpk_lt_u32 s11, 0x3b2
	s_cbranch_scc1 .LBB0_954
.LBB0_1977:
	buffer_load_dword v0, off, s[0:3], 0 offset:3796
	v_mov_b32_e32 v1, 0
	s_waitcnt vmcnt(0)
	global_store_dword v1, v0, s[6:7] offset:3780
	s_cmpk_lt_u32 s11, 0x3b3
	s_cbranch_scc1 .LBB0_955
.LBB0_1978:
	buffer_load_dword v0, off, s[0:3], 0 offset:3800
	v_mov_b32_e32 v1, 0
	s_waitcnt vmcnt(0)
	global_store_dword v1, v0, s[6:7] offset:3784
	s_cmpk_lt_u32 s11, 0x3b4
	s_cbranch_scc1 .LBB0_956
.LBB0_1979:
	buffer_load_dword v0, off, s[0:3], 0 offset:3804
	v_mov_b32_e32 v1, 0
	s_waitcnt vmcnt(0)
	global_store_dword v1, v0, s[6:7] offset:3788
	s_cmpk_lt_u32 s11, 0x3b5
	s_cbranch_scc1 .LBB0_957
.LBB0_1980:
	buffer_load_dword v0, off, s[0:3], 0 offset:3808
	v_mov_b32_e32 v1, 0
	s_waitcnt vmcnt(0)
	global_store_dword v1, v0, s[6:7] offset:3792
	s_cmpk_lt_u32 s11, 0x3b6
	s_cbranch_scc1 .LBB0_958
.LBB0_1981:
	buffer_load_dword v0, off, s[0:3], 0 offset:3812
	v_mov_b32_e32 v1, 0
	s_waitcnt vmcnt(0)
	global_store_dword v1, v0, s[6:7] offset:3796
	s_cmpk_lt_u32 s11, 0x3b7
	s_cbranch_scc1 .LBB0_959
.LBB0_1982:
	buffer_load_dword v0, off, s[0:3], 0 offset:3816
	v_mov_b32_e32 v1, 0
	s_waitcnt vmcnt(0)
	global_store_dword v1, v0, s[6:7] offset:3800
	s_cmpk_lt_u32 s11, 0x3b8
	s_cbranch_scc1 .LBB0_960
.LBB0_1983:
	buffer_load_dword v0, off, s[0:3], 0 offset:3820
	v_mov_b32_e32 v1, 0
	s_waitcnt vmcnt(0)
	global_store_dword v1, v0, s[6:7] offset:3804
	s_cmpk_lt_u32 s11, 0x3b9
	s_cbranch_scc1 .LBB0_961
.LBB0_1984:
	buffer_load_dword v0, off, s[0:3], 0 offset:3824
	v_mov_b32_e32 v1, 0
	s_waitcnt vmcnt(0)
	global_store_dword v1, v0, s[6:7] offset:3808
	s_cmpk_lt_u32 s11, 0x3ba
	s_cbranch_scc1 .LBB0_962
.LBB0_1985:
	buffer_load_dword v0, off, s[0:3], 0 offset:3828
	v_mov_b32_e32 v1, 0
	s_waitcnt vmcnt(0)
	global_store_dword v1, v0, s[6:7] offset:3812
	s_cmpk_lt_u32 s11, 0x3bb
	s_cbranch_scc1 .LBB0_963
.LBB0_1986:
	buffer_load_dword v0, off, s[0:3], 0 offset:3832
	v_mov_b32_e32 v1, 0
	s_waitcnt vmcnt(0)
	global_store_dword v1, v0, s[6:7] offset:3816
	s_cmpk_lt_u32 s11, 0x3bc
	s_cbranch_scc1 .LBB0_964
.LBB0_1987:
	buffer_load_dword v0, off, s[0:3], 0 offset:3836
	v_mov_b32_e32 v1, 0
	s_waitcnt vmcnt(0)
	global_store_dword v1, v0, s[6:7] offset:3820
	s_cmpk_lt_u32 s11, 0x3bd
	s_cbranch_scc1 .LBB0_965
.LBB0_1988:
	buffer_load_dword v0, off, s[0:3], 0 offset:3840
	v_mov_b32_e32 v1, 0
	s_waitcnt vmcnt(0)
	global_store_dword v1, v0, s[6:7] offset:3824
	s_cmpk_lt_u32 s11, 0x3be
	s_cbranch_scc1 .LBB0_966
.LBB0_1989:
	buffer_load_dword v0, off, s[0:3], 0 offset:3844
	v_mov_b32_e32 v1, 0
	s_waitcnt vmcnt(0)
	global_store_dword v1, v0, s[6:7] offset:3828
	s_cmpk_lt_u32 s11, 0x3bf
	s_cbranch_scc1 .LBB0_967
.LBB0_1990:
	buffer_load_dword v0, off, s[0:3], 0 offset:3848
	v_mov_b32_e32 v1, 0
	s_waitcnt vmcnt(0)
	global_store_dword v1, v0, s[6:7] offset:3832
	s_cmpk_lt_u32 s11, 0x3c0
	s_cbranch_scc1 .LBB0_968
.LBB0_1991:
	buffer_load_dword v0, off, s[0:3], 0 offset:3852
	v_mov_b32_e32 v1, 0
	s_waitcnt vmcnt(0)
	global_store_dword v1, v0, s[6:7] offset:3836
	s_cmpk_lt_u32 s11, 0x3c1
	s_cbranch_scc1 .LBB0_969
.LBB0_1992:
	buffer_load_dword v0, off, s[0:3], 0 offset:3856
	v_mov_b32_e32 v1, 0
	s_waitcnt vmcnt(0)
	global_store_dword v1, v0, s[6:7] offset:3840
	s_cmpk_lt_u32 s11, 0x3c2
	s_cbranch_scc1 .LBB0_970
.LBB0_1993:
	buffer_load_dword v0, off, s[0:3], 0 offset:3860
	v_mov_b32_e32 v1, 0
	s_waitcnt vmcnt(0)
	global_store_dword v1, v0, s[6:7] offset:3844
	s_cmpk_lt_u32 s11, 0x3c3
	s_cbranch_scc1 .LBB0_971
.LBB0_1994:
	buffer_load_dword v0, off, s[0:3], 0 offset:3864
	v_mov_b32_e32 v1, 0
	s_waitcnt vmcnt(0)
	global_store_dword v1, v0, s[6:7] offset:3848
	s_cmpk_lt_u32 s11, 0x3c4
	s_cbranch_scc1 .LBB0_972
.LBB0_1995:
	buffer_load_dword v0, off, s[0:3], 0 offset:3868
	v_mov_b32_e32 v1, 0
	s_waitcnt vmcnt(0)
	global_store_dword v1, v0, s[6:7] offset:3852
	s_cmpk_lt_u32 s11, 0x3c5
	s_cbranch_scc1 .LBB0_973
.LBB0_1996:
	buffer_load_dword v0, off, s[0:3], 0 offset:3872
	v_mov_b32_e32 v1, 0
	s_waitcnt vmcnt(0)
	global_store_dword v1, v0, s[6:7] offset:3856
	s_cmpk_lt_u32 s11, 0x3c6
	s_cbranch_scc1 .LBB0_974
.LBB0_1997:
	buffer_load_dword v0, off, s[0:3], 0 offset:3876
	v_mov_b32_e32 v1, 0
	s_waitcnt vmcnt(0)
	global_store_dword v1, v0, s[6:7] offset:3860
	s_cmpk_lt_u32 s11, 0x3c7
	s_cbranch_scc1 .LBB0_975
.LBB0_1998:
	buffer_load_dword v0, off, s[0:3], 0 offset:3880
	v_mov_b32_e32 v1, 0
	s_waitcnt vmcnt(0)
	global_store_dword v1, v0, s[6:7] offset:3864
	s_cmpk_lt_u32 s11, 0x3c8
	s_cbranch_scc1 .LBB0_976
.LBB0_1999:
	buffer_load_dword v0, off, s[0:3], 0 offset:3884
	v_mov_b32_e32 v1, 0
	s_waitcnt vmcnt(0)
	global_store_dword v1, v0, s[6:7] offset:3868
	s_cmpk_lt_u32 s11, 0x3c9
	s_cbranch_scc1 .LBB0_977
.LBB0_2000:
	buffer_load_dword v0, off, s[0:3], 0 offset:3888
	v_mov_b32_e32 v1, 0
	s_waitcnt vmcnt(0)
	global_store_dword v1, v0, s[6:7] offset:3872
	s_cmpk_lt_u32 s11, 0x3ca
	s_cbranch_scc1 .LBB0_978
.LBB0_2001:
	buffer_load_dword v0, off, s[0:3], 0 offset:3892
	v_mov_b32_e32 v1, 0
	s_waitcnt vmcnt(0)
	global_store_dword v1, v0, s[6:7] offset:3876
	s_cmpk_lt_u32 s11, 0x3cb
	s_cbranch_scc1 .LBB0_979
.LBB0_2002:
	buffer_load_dword v0, off, s[0:3], 0 offset:3896
	v_mov_b32_e32 v1, 0
	s_waitcnt vmcnt(0)
	global_store_dword v1, v0, s[6:7] offset:3880
	s_cmpk_lt_u32 s11, 0x3cc
	s_cbranch_scc1 .LBB0_980
.LBB0_2003:
	buffer_load_dword v0, off, s[0:3], 0 offset:3900
	v_mov_b32_e32 v1, 0
	s_waitcnt vmcnt(0)
	global_store_dword v1, v0, s[6:7] offset:3884
	s_cmpk_lt_u32 s11, 0x3cd
	s_cbranch_scc1 .LBB0_981
.LBB0_2004:
	buffer_load_dword v0, off, s[0:3], 0 offset:3904
	v_mov_b32_e32 v1, 0
	s_waitcnt vmcnt(0)
	global_store_dword v1, v0, s[6:7] offset:3888
	s_cmpk_lt_u32 s11, 0x3ce
	s_cbranch_scc1 .LBB0_982
.LBB0_2005:
	buffer_load_dword v0, off, s[0:3], 0 offset:3908
	v_mov_b32_e32 v1, 0
	s_waitcnt vmcnt(0)
	global_store_dword v1, v0, s[6:7] offset:3892
	s_cmpk_lt_u32 s11, 0x3cf
	s_cbranch_scc1 .LBB0_983
.LBB0_2006:
	buffer_load_dword v0, off, s[0:3], 0 offset:3912
	v_mov_b32_e32 v1, 0
	s_waitcnt vmcnt(0)
	global_store_dword v1, v0, s[6:7] offset:3896
	s_cmpk_lt_u32 s11, 0x3d0
	s_cbranch_scc1 .LBB0_984
.LBB0_2007:
	buffer_load_dword v0, off, s[0:3], 0 offset:3916
	v_mov_b32_e32 v1, 0
	s_waitcnt vmcnt(0)
	global_store_dword v1, v0, s[6:7] offset:3900
	s_cmpk_lt_u32 s11, 0x3d1
	s_cbranch_scc1 .LBB0_985
.LBB0_2008:
	buffer_load_dword v0, off, s[0:3], 0 offset:3920
	v_mov_b32_e32 v1, 0
	s_waitcnt vmcnt(0)
	global_store_dword v1, v0, s[6:7] offset:3904
	s_cmpk_lt_u32 s11, 0x3d2
	s_cbranch_scc1 .LBB0_986
.LBB0_2009:
	buffer_load_dword v0, off, s[0:3], 0 offset:3924
	v_mov_b32_e32 v1, 0
	s_waitcnt vmcnt(0)
	global_store_dword v1, v0, s[6:7] offset:3908
	s_cmpk_lt_u32 s11, 0x3d3
	s_cbranch_scc1 .LBB0_987
.LBB0_2010:
	buffer_load_dword v0, off, s[0:3], 0 offset:3928
	v_mov_b32_e32 v1, 0
	s_waitcnt vmcnt(0)
	global_store_dword v1, v0, s[6:7] offset:3912
	s_cmpk_lt_u32 s11, 0x3d4
	s_cbranch_scc1 .LBB0_988
.LBB0_2011:
	buffer_load_dword v0, off, s[0:3], 0 offset:3932
	v_mov_b32_e32 v1, 0
	s_waitcnt vmcnt(0)
	global_store_dword v1, v0, s[6:7] offset:3916
	s_cmpk_lt_u32 s11, 0x3d5
	s_cbranch_scc1 .LBB0_989
.LBB0_2012:
	buffer_load_dword v0, off, s[0:3], 0 offset:3936
	v_mov_b32_e32 v1, 0
	s_waitcnt vmcnt(0)
	global_store_dword v1, v0, s[6:7] offset:3920
	s_cmpk_lt_u32 s11, 0x3d6
	s_cbranch_scc1 .LBB0_990
.LBB0_2013:
	buffer_load_dword v0, off, s[0:3], 0 offset:3940
	v_mov_b32_e32 v1, 0
	s_waitcnt vmcnt(0)
	global_store_dword v1, v0, s[6:7] offset:3924
	s_cmpk_lt_u32 s11, 0x3d7
	s_cbranch_scc1 .LBB0_991
.LBB0_2014:
	buffer_load_dword v0, off, s[0:3], 0 offset:3944
	v_mov_b32_e32 v1, 0
	s_waitcnt vmcnt(0)
	global_store_dword v1, v0, s[6:7] offset:3928
	s_cmpk_lt_u32 s11, 0x3d8
	s_cbranch_scc1 .LBB0_992
.LBB0_2015:
	buffer_load_dword v0, off, s[0:3], 0 offset:3948
	v_mov_b32_e32 v1, 0
	s_waitcnt vmcnt(0)
	global_store_dword v1, v0, s[6:7] offset:3932
	s_cmpk_lt_u32 s11, 0x3d9
	s_cbranch_scc1 .LBB0_993
.LBB0_2016:
	buffer_load_dword v0, off, s[0:3], 0 offset:3952
	v_mov_b32_e32 v1, 0
	s_waitcnt vmcnt(0)
	global_store_dword v1, v0, s[6:7] offset:3936
	s_cmpk_lt_u32 s11, 0x3da
	s_cbranch_scc1 .LBB0_994
.LBB0_2017:
	buffer_load_dword v0, off, s[0:3], 0 offset:3956
	v_mov_b32_e32 v1, 0
	s_waitcnt vmcnt(0)
	global_store_dword v1, v0, s[6:7] offset:3940
	s_cmpk_lt_u32 s11, 0x3db
	s_cbranch_scc1 .LBB0_995
.LBB0_2018:
	buffer_load_dword v0, off, s[0:3], 0 offset:3960
	v_mov_b32_e32 v1, 0
	s_waitcnt vmcnt(0)
	global_store_dword v1, v0, s[6:7] offset:3944
	s_cmpk_lt_u32 s11, 0x3dc
	s_cbranch_scc1 .LBB0_996
.LBB0_2019:
	buffer_load_dword v0, off, s[0:3], 0 offset:3964
	v_mov_b32_e32 v1, 0
	s_waitcnt vmcnt(0)
	global_store_dword v1, v0, s[6:7] offset:3948
	s_cmpk_lt_u32 s11, 0x3dd
	s_cbranch_scc1 .LBB0_997
.LBB0_2020:
	buffer_load_dword v0, off, s[0:3], 0 offset:3968
	v_mov_b32_e32 v1, 0
	s_waitcnt vmcnt(0)
	global_store_dword v1, v0, s[6:7] offset:3952
	s_cmpk_lt_u32 s11, 0x3de
	s_cbranch_scc1 .LBB0_998
.LBB0_2021:
	buffer_load_dword v0, off, s[0:3], 0 offset:3972
	v_mov_b32_e32 v1, 0
	s_waitcnt vmcnt(0)
	global_store_dword v1, v0, s[6:7] offset:3956
	s_cmpk_lt_u32 s11, 0x3df
	s_cbranch_scc1 .LBB0_999
.LBB0_2022:
	buffer_load_dword v0, off, s[0:3], 0 offset:3976
	v_mov_b32_e32 v1, 0
	s_waitcnt vmcnt(0)
	global_store_dword v1, v0, s[6:7] offset:3960
	s_cmpk_lt_u32 s11, 0x3e0
	s_cbranch_scc1 .LBB0_1000
.LBB0_2023:
	buffer_load_dword v0, off, s[0:3], 0 offset:3980
	v_mov_b32_e32 v1, 0
	s_waitcnt vmcnt(0)
	global_store_dword v1, v0, s[6:7] offset:3964
	s_cmpk_lt_u32 s11, 0x3e1
	s_cbranch_scc1 .LBB0_1001
.LBB0_2024:
	buffer_load_dword v0, off, s[0:3], 0 offset:3984
	v_mov_b32_e32 v1, 0
	s_waitcnt vmcnt(0)
	global_store_dword v1, v0, s[6:7] offset:3968
	s_cmpk_lt_u32 s11, 0x3e2
	s_cbranch_scc1 .LBB0_1002
.LBB0_2025:
	buffer_load_dword v0, off, s[0:3], 0 offset:3988
	v_mov_b32_e32 v1, 0
	s_waitcnt vmcnt(0)
	global_store_dword v1, v0, s[6:7] offset:3972
	s_cmpk_lt_u32 s11, 0x3e3
	s_cbranch_scc1 .LBB0_1003
.LBB0_2026:
	buffer_load_dword v0, off, s[0:3], 0 offset:3992
	v_mov_b32_e32 v1, 0
	s_waitcnt vmcnt(0)
	global_store_dword v1, v0, s[6:7] offset:3976
	s_cmpk_lt_u32 s11, 0x3e4
	s_cbranch_scc1 .LBB0_1004
.LBB0_2027:
	buffer_load_dword v0, off, s[0:3], 0 offset:3996
	v_mov_b32_e32 v1, 0
	s_waitcnt vmcnt(0)
	global_store_dword v1, v0, s[6:7] offset:3980
	s_cmpk_lt_u32 s11, 0x3e5
	s_cbranch_scc1 .LBB0_1005
.LBB0_2028:
	buffer_load_dword v0, off, s[0:3], 0 offset:4000
	v_mov_b32_e32 v1, 0
	s_waitcnt vmcnt(0)
	global_store_dword v1, v0, s[6:7] offset:3984
	s_cmpk_lt_u32 s11, 0x3e6
	s_cbranch_scc1 .LBB0_1006
.LBB0_2029:
	buffer_load_dword v0, off, s[0:3], 0 offset:4004
	v_mov_b32_e32 v1, 0
	s_waitcnt vmcnt(0)
	global_store_dword v1, v0, s[6:7] offset:3988
	s_cmpk_lt_u32 s11, 0x3e7
	s_cbranch_scc1 .LBB0_1007
.LBB0_2030:
	buffer_load_dword v0, off, s[0:3], 0 offset:4008
	v_mov_b32_e32 v1, 0
	s_waitcnt vmcnt(0)
	global_store_dword v1, v0, s[6:7] offset:3992
	s_cmpk_lt_u32 s11, 0x3e8
	s_cbranch_scc1 .LBB0_1008
.LBB0_2031:
	buffer_load_dword v0, off, s[0:3], 0 offset:4012
	v_mov_b32_e32 v1, 0
	s_waitcnt vmcnt(0)
	global_store_dword v1, v0, s[6:7] offset:3996
	s_cmpk_lt_u32 s11, 0x3e9
	s_cbranch_scc1 .LBB0_1009
.LBB0_2032:
	buffer_load_dword v0, off, s[0:3], 0 offset:4016
	v_mov_b32_e32 v1, 0
	s_waitcnt vmcnt(0)
	global_store_dword v1, v0, s[6:7] offset:4000
	s_cmpk_lt_u32 s11, 0x3ea
	s_cbranch_scc1 .LBB0_1010
.LBB0_2033:
	buffer_load_dword v0, off, s[0:3], 0 offset:4020
	v_mov_b32_e32 v1, 0
	s_waitcnt vmcnt(0)
	global_store_dword v1, v0, s[6:7] offset:4004
	s_cmpk_lt_u32 s11, 0x3eb
	s_cbranch_scc1 .LBB0_1011
.LBB0_2034:
	buffer_load_dword v0, off, s[0:3], 0 offset:4024
	v_mov_b32_e32 v1, 0
	s_waitcnt vmcnt(0)
	global_store_dword v1, v0, s[6:7] offset:4008
	s_cmpk_lt_u32 s11, 0x3ec
	s_cbranch_scc1 .LBB0_1012
.LBB0_2035:
	buffer_load_dword v0, off, s[0:3], 0 offset:4028
	v_mov_b32_e32 v1, 0
	s_waitcnt vmcnt(0)
	global_store_dword v1, v0, s[6:7] offset:4012
	s_cmpk_lt_u32 s11, 0x3ed
	s_cbranch_scc1 .LBB0_1013
.LBB0_2036:
	buffer_load_dword v0, off, s[0:3], 0 offset:4032
	v_mov_b32_e32 v1, 0
	s_waitcnt vmcnt(0)
	global_store_dword v1, v0, s[6:7] offset:4016
	s_cmpk_lt_u32 s11, 0x3ee
	s_cbranch_scc1 .LBB0_1014
.LBB0_2037:
	buffer_load_dword v0, off, s[0:3], 0 offset:4036
	v_mov_b32_e32 v1, 0
	s_waitcnt vmcnt(0)
	global_store_dword v1, v0, s[6:7] offset:4020
	s_cmpk_lt_u32 s11, 0x3ef
	s_cbranch_scc1 .LBB0_1015
.LBB0_2038:
	buffer_load_dword v0, off, s[0:3], 0 offset:4040
	v_mov_b32_e32 v1, 0
	s_waitcnt vmcnt(0)
	global_store_dword v1, v0, s[6:7] offset:4024
	s_cmpk_lt_u32 s11, 0x3f0
	s_cbranch_scc1 .LBB0_1016
.LBB0_2039:
	buffer_load_dword v0, off, s[0:3], 0 offset:4044
	v_mov_b32_e32 v1, 0
	s_waitcnt vmcnt(0)
	global_store_dword v1, v0, s[6:7] offset:4028
	s_cmpk_lt_u32 s11, 0x3f1
	s_cbranch_scc1 .LBB0_1017
.LBB0_2040:
	buffer_load_dword v0, off, s[0:3], 0 offset:4048
	v_mov_b32_e32 v1, 0
	s_waitcnt vmcnt(0)
	global_store_dword v1, v0, s[6:7] offset:4032
	s_cmpk_lt_u32 s11, 0x3f2
	s_cbranch_scc1 .LBB0_1018
.LBB0_2041:
	buffer_load_dword v0, off, s[0:3], 0 offset:4052
	v_mov_b32_e32 v1, 0
	s_waitcnt vmcnt(0)
	global_store_dword v1, v0, s[6:7] offset:4036
	s_cmpk_lt_u32 s11, 0x3f3
	s_cbranch_scc1 .LBB0_1019
.LBB0_2042:
	buffer_load_dword v0, off, s[0:3], 0 offset:4056
	v_mov_b32_e32 v1, 0
	s_waitcnt vmcnt(0)
	global_store_dword v1, v0, s[6:7] offset:4040
	s_cmpk_lt_u32 s11, 0x3f4
	s_cbranch_scc1 .LBB0_1020
.LBB0_2043:
	buffer_load_dword v0, off, s[0:3], 0 offset:4060
	v_mov_b32_e32 v1, 0
	s_waitcnt vmcnt(0)
	global_store_dword v1, v0, s[6:7] offset:4044
	s_cmpk_lt_u32 s11, 0x3f5
	s_cbranch_scc1 .LBB0_1021
.LBB0_2044:
	buffer_load_dword v0, off, s[0:3], 0 offset:4064
	v_mov_b32_e32 v1, 0
	s_waitcnt vmcnt(0)
	global_store_dword v1, v0, s[6:7] offset:4048
	s_cmpk_lt_u32 s11, 0x3f6
	s_cbranch_scc1 .LBB0_1022
.LBB0_2045:
	buffer_load_dword v0, off, s[0:3], 0 offset:4068
	v_mov_b32_e32 v1, 0
	s_waitcnt vmcnt(0)
	global_store_dword v1, v0, s[6:7] offset:4052
	s_cmpk_lt_u32 s11, 0x3f7
	s_cbranch_scc1 .LBB0_1023
.LBB0_2046:
	buffer_load_dword v0, off, s[0:3], 0 offset:4072
	v_mov_b32_e32 v1, 0
	s_waitcnt vmcnt(0)
	global_store_dword v1, v0, s[6:7] offset:4056
	s_cmpk_lt_u32 s11, 0x3f8
	s_cbranch_scc1 .LBB0_1024
.LBB0_2047:
	buffer_load_dword v0, off, s[0:3], 0 offset:4076
	v_mov_b32_e32 v1, 0
	s_waitcnt vmcnt(0)
	global_store_dword v1, v0, s[6:7] offset:4060
	s_cmpk_lt_u32 s11, 0x3f9
	s_cbranch_scc1 .LBB0_1025
.LBB0_2048:
	buffer_load_dword v0, off, s[0:3], 0 offset:4080
	v_mov_b32_e32 v1, 0
	s_waitcnt vmcnt(0)
	global_store_dword v1, v0, s[6:7] offset:4064
	s_cmpk_lt_u32 s11, 0x3fa
	s_cbranch_scc1 .LBB0_1026
.LBB0_2049:
	buffer_load_dword v0, off, s[0:3], 0 offset:4084
	v_mov_b32_e32 v1, 0
	s_waitcnt vmcnt(0)
	global_store_dword v1, v0, s[6:7] offset:4068
	s_cmpk_lt_u32 s11, 0x3fb
	s_cbranch_scc1 .LBB0_1027
.LBB0_2050:
	buffer_load_dword v0, off, s[0:3], 0 offset:4088
	v_mov_b32_e32 v1, 0
	s_waitcnt vmcnt(0)
	global_store_dword v1, v0, s[6:7] offset:4072
	s_cmpk_lt_u32 s11, 0x3fc
	s_cbranch_scc1 .LBB0_1028
.LBB0_2051:
	buffer_load_dword v0, off, s[0:3], 0 offset:4092
	v_mov_b32_e32 v1, 0
	s_waitcnt vmcnt(0)
	global_store_dword v1, v0, s[6:7] offset:4076
	s_cmpk_lt_u32 s11, 0x3fd
	s_cbranch_scc1 .LBB0_1029
.LBB0_2052:
	v_mov_b32_e32 v1, 16
	buffer_load_dword v0, v1, s[0:3], 0 offen offset:4080
	v_mov_b32_e32 v1, 0
	s_waitcnt vmcnt(0)
	global_store_dword v1, v0, s[6:7] offset:4080
	s_cmpk_lt_u32 s11, 0x3fe
	s_cbranch_scc1 .LBB0_1030
.LBB0_2053:
	v_mov_b32_e32 v1, 16
	buffer_load_dword v0, v1, s[0:3], 0 offen offset:4084
	v_mov_b32_e32 v1, 0
	s_waitcnt vmcnt(0)
	global_store_dword v1, v0, s[6:7] offset:4084
	s_cmpk_lt_u32 s11, 0x3ff
	s_cbranch_scc1 .LBB0_1031
.LBB0_2054:
	v_mov_b32_e32 v1, 16
	buffer_load_dword v0, v1, s[0:3], 0 offen offset:4088
	v_mov_b32_e32 v1, 0
	s_waitcnt vmcnt(0)
	global_store_dword v1, v0, s[6:7] offset:4088
	s_cmpk_lt_u32 s11, 0x400
	s_cbranch_scc1 .LBB0_1032
.LBB0_2055:
	v_mov_b32_e32 v1, 16
	buffer_load_dword v0, v1, s[0:3], 0 offen offset:4092
	v_mov_b32_e32 v1, 0
	s_waitcnt vmcnt(0)
	global_store_dword v1, v0, s[6:7] offset:4092
	s_endpgm
	.section	.rodata,"a",@progbits
	.p2align	6, 0x0
	.amdhsa_kernel _Z12merge_kernelILi1024EiN7rocprim17ROCPRIM_304000_NS4lessIiEEEvPT0_NS1_6detail7range_tIjEET1_
		.amdhsa_group_segment_fixed_size 0
		.amdhsa_private_segment_fixed_size 4112
		.amdhsa_kernarg_size 28
		.amdhsa_user_sgpr_count 6
		.amdhsa_user_sgpr_private_segment_buffer 1
		.amdhsa_user_sgpr_dispatch_ptr 0
		.amdhsa_user_sgpr_queue_ptr 0
		.amdhsa_user_sgpr_kernarg_segment_ptr 1
		.amdhsa_user_sgpr_dispatch_id 0
		.amdhsa_user_sgpr_flat_scratch_init 0
		.amdhsa_user_sgpr_private_segment_size 0
		.amdhsa_uses_dynamic_stack 0
		.amdhsa_system_sgpr_private_segment_wavefront_offset 1
		.amdhsa_system_sgpr_workgroup_id_x 1
		.amdhsa_system_sgpr_workgroup_id_y 0
		.amdhsa_system_sgpr_workgroup_id_z 0
		.amdhsa_system_sgpr_workgroup_info 0
		.amdhsa_system_vgpr_workitem_id 0
		.amdhsa_next_free_vgpr 3
		.amdhsa_next_free_sgpr 22
		.amdhsa_reserve_vcc 1
		.amdhsa_reserve_flat_scratch 0
		.amdhsa_float_round_mode_32 0
		.amdhsa_float_round_mode_16_64 0
		.amdhsa_float_denorm_mode_32 3
		.amdhsa_float_denorm_mode_16_64 3
		.amdhsa_dx10_clamp 1
		.amdhsa_ieee_mode 1
		.amdhsa_fp16_overflow 0
		.amdhsa_exception_fp_ieee_invalid_op 0
		.amdhsa_exception_fp_denorm_src 0
		.amdhsa_exception_fp_ieee_div_zero 0
		.amdhsa_exception_fp_ieee_overflow 0
		.amdhsa_exception_fp_ieee_underflow 0
		.amdhsa_exception_fp_ieee_inexact 0
		.amdhsa_exception_int_div_zero 0
	.end_amdhsa_kernel
	.section	.text._Z12merge_kernelILi1024EiN7rocprim17ROCPRIM_304000_NS4lessIiEEEvPT0_NS1_6detail7range_tIjEET1_,"axG",@progbits,_Z12merge_kernelILi1024EiN7rocprim17ROCPRIM_304000_NS4lessIiEEEvPT0_NS1_6detail7range_tIjEET1_,comdat
.Lfunc_end0:
	.size	_Z12merge_kernelILi1024EiN7rocprim17ROCPRIM_304000_NS4lessIiEEEvPT0_NS1_6detail7range_tIjEET1_, .Lfunc_end0-_Z12merge_kernelILi1024EiN7rocprim17ROCPRIM_304000_NS4lessIiEEEvPT0_NS1_6detail7range_tIjEET1_
                                        ; -- End function
	.set _Z12merge_kernelILi1024EiN7rocprim17ROCPRIM_304000_NS4lessIiEEEvPT0_NS1_6detail7range_tIjEET1_.num_vgpr, 3
	.set _Z12merge_kernelILi1024EiN7rocprim17ROCPRIM_304000_NS4lessIiEEEvPT0_NS1_6detail7range_tIjEET1_.num_agpr, 0
	.set _Z12merge_kernelILi1024EiN7rocprim17ROCPRIM_304000_NS4lessIiEEEvPT0_NS1_6detail7range_tIjEET1_.numbered_sgpr, 22
	.set _Z12merge_kernelILi1024EiN7rocprim17ROCPRIM_304000_NS4lessIiEEEvPT0_NS1_6detail7range_tIjEET1_.num_named_barrier, 0
	.set _Z12merge_kernelILi1024EiN7rocprim17ROCPRIM_304000_NS4lessIiEEEvPT0_NS1_6detail7range_tIjEET1_.private_seg_size, 4112
	.set _Z12merge_kernelILi1024EiN7rocprim17ROCPRIM_304000_NS4lessIiEEEvPT0_NS1_6detail7range_tIjEET1_.uses_vcc, 1
	.set _Z12merge_kernelILi1024EiN7rocprim17ROCPRIM_304000_NS4lessIiEEEvPT0_NS1_6detail7range_tIjEET1_.uses_flat_scratch, 0
	.set _Z12merge_kernelILi1024EiN7rocprim17ROCPRIM_304000_NS4lessIiEEEvPT0_NS1_6detail7range_tIjEET1_.has_dyn_sized_stack, 0
	.set _Z12merge_kernelILi1024EiN7rocprim17ROCPRIM_304000_NS4lessIiEEEvPT0_NS1_6detail7range_tIjEET1_.has_recursion, 0
	.set _Z12merge_kernelILi1024EiN7rocprim17ROCPRIM_304000_NS4lessIiEEEvPT0_NS1_6detail7range_tIjEET1_.has_indirect_call, 0
	.section	.AMDGPU.csdata,"",@progbits
; Kernel info:
; codeLenInByte = 102576
; TotalNumSgprs: 26
; NumVgprs: 3
; ScratchSize: 4112
; MemoryBound: 0
; FloatMode: 240
; IeeeMode: 1
; LDSByteSize: 0 bytes/workgroup (compile time only)
; SGPRBlocks: 3
; VGPRBlocks: 0
; NumSGPRsForWavesPerEU: 26
; NumVGPRsForWavesPerEU: 3
; Occupancy: 10
; WaveLimiterHint : 0
; COMPUTE_PGM_RSRC2:SCRATCH_EN: 1
; COMPUTE_PGM_RSRC2:USER_SGPR: 6
; COMPUTE_PGM_RSRC2:TRAP_HANDLER: 0
; COMPUTE_PGM_RSRC2:TGID_X_EN: 1
; COMPUTE_PGM_RSRC2:TGID_Y_EN: 0
; COMPUTE_PGM_RSRC2:TGID_Z_EN: 0
; COMPUTE_PGM_RSRC2:TIDIG_COMP_CNT: 0
	.section	.AMDGPU.gpr_maximums,"",@progbits
	.set amdgpu.max_num_vgpr, 0
	.set amdgpu.max_num_agpr, 0
	.set amdgpu.max_num_sgpr, 0
	.section	.AMDGPU.csdata,"",@progbits
	.type	__hip_cuid_84f82f4d102d4820,@object ; @__hip_cuid_84f82f4d102d4820
	.section	.bss,"aw",@nobits
	.globl	__hip_cuid_84f82f4d102d4820
__hip_cuid_84f82f4d102d4820:
	.byte	0                               ; 0x0
	.size	__hip_cuid_84f82f4d102d4820, 1

	.ident	"AMD clang version 22.0.0git (https://github.com/RadeonOpenCompute/llvm-project roc-7.2.4 26084 f58b06dce1f9c15707c5f808fd002e18c2accf7e)"
	.section	".note.GNU-stack","",@progbits
	.addrsig
	.addrsig_sym __hip_cuid_84f82f4d102d4820
	.amdgpu_metadata
---
amdhsa.kernels:
  - .args:
      - .address_space:  global
        .offset:         0
        .size:           8
        .value_kind:     global_buffer
      - .offset:         8
        .size:           16
        .value_kind:     by_value
      - .offset:         24
        .size:           1
        .value_kind:     by_value
    .group_segment_fixed_size: 0
    .kernarg_segment_align: 8
    .kernarg_segment_size: 28
    .language:       OpenCL C
    .language_version:
      - 2
      - 0
    .max_flat_workgroup_size: 1024
    .name:           _Z12merge_kernelILi1024EiN7rocprim17ROCPRIM_304000_NS4lessIiEEEvPT0_NS1_6detail7range_tIjEET1_
    .private_segment_fixed_size: 4112
    .sgpr_count:     26
    .sgpr_spill_count: 0
    .symbol:         _Z12merge_kernelILi1024EiN7rocprim17ROCPRIM_304000_NS4lessIiEEEvPT0_NS1_6detail7range_tIjEET1_.kd
    .uniform_work_group_size: 1
    .uses_dynamic_stack: false
    .vgpr_count:     3
    .vgpr_spill_count: 0
    .wavefront_size: 64
amdhsa.target:   amdgcn-amd-amdhsa--gfx906
amdhsa.version:
  - 1
  - 2
...

	.end_amdgpu_metadata
